;; amdgpu-corpus repo=ggml-org/llama.cpp kind=compiled arch=gfx942 opt=O3
	.text
	.amdgcn_target "amdgcn-amd-amdhsa--gfx942"
	.amdhsa_code_object_version 6
	.section	.text._ZL18flash_attn_ext_vecILi64ELi1EL9ggml_type2ELS0_30ELb0EEvPKcS2_S2_S2_S2_PKiPfP15HIP_vector_typeIfLj2EEffffjfiS6_IjLj3EEiiiiiiiiiiiliiliiiiil,"axG",@progbits,_ZL18flash_attn_ext_vecILi64ELi1EL9ggml_type2ELS0_30ELb0EEvPKcS2_S2_S2_S2_PKiPfP15HIP_vector_typeIfLj2EEffffjfiS6_IjLj3EEiiiiiiiiiiiliiliiiiil,comdat
	.globl	_ZL18flash_attn_ext_vecILi64ELi1EL9ggml_type2ELS0_30ELb0EEvPKcS2_S2_S2_S2_PKiPfP15HIP_vector_typeIfLj2EEffffjfiS6_IjLj3EEiiiiiiiiiiiliiliiiiil ; -- Begin function _ZL18flash_attn_ext_vecILi64ELi1EL9ggml_type2ELS0_30ELb0EEvPKcS2_S2_S2_S2_PKiPfP15HIP_vector_typeIfLj2EEffffjfiS6_IjLj3EEiiiiiiiiiiiliiliiiiil
	.p2align	8
	.type	_ZL18flash_attn_ext_vecILi64ELi1EL9ggml_type2ELS0_30ELb0EEvPKcS2_S2_S2_S2_PKiPfP15HIP_vector_typeIfLj2EEffffjfiS6_IjLj3EEiiiiiiiiiiiliiliiiiil,@function
_ZL18flash_attn_ext_vecILi64ELi1EL9ggml_type2ELS0_30ELb0EEvPKcS2_S2_S2_S2_PKiPfP15HIP_vector_typeIfLj2EEffffjfiS6_IjLj3EEiiiiiiiiiiiliiliiiiil: ; @_ZL18flash_attn_ext_vecILi64ELi1EL9ggml_type2ELS0_30ELb0EEvPKcS2_S2_S2_S2_PKiPfP15HIP_vector_typeIfLj2EEffffjfiS6_IjLj3EEiiiiiiiiiiiliiliiiiil
; %bb.0:
	s_load_dwordx2 s[34:35], s[0:1], 0x64
	s_load_dwordx2 s[42:43], s[0:1], 0x80
	;; [unrolled: 1-line block ×3, first 2 shown]
	v_mov_b32_e32 v49, 1.0
	s_waitcnt lgkmcnt(0)
	v_cvt_f32_u32_e32 v1, s35
	s_sub_i32 s5, 0, s35
	v_rcp_iflag_f32_e32 v1, v1
	s_nop 0
	v_mul_f32_e32 v1, 0x4f7ffffe, v1
	v_cvt_u32_f32_e32 v1, v1
	s_nop 0
	v_readfirstlane_b32 s6, v1
	s_mul_i32 s5, s5, s6
	s_mul_hi_u32 s5, s6, s5
	s_add_i32 s6, s6, s5
	s_mul_hi_u32 s5, s4, s6
	s_mul_i32 s6, s5, s35
	s_sub_i32 s6, s4, s6
	s_add_i32 s7, s5, 1
	s_sub_i32 s8, s6, s35
	s_cmp_ge_u32 s6, s35
	s_cselect_b32 s5, s7, s5
	s_cselect_b32 s6, s8, s6
	s_add_i32 s7, s5, 1
	s_cmp_ge_u32 s6, s35
	s_cselect_b32 s33, s7, s5
	s_abs_i32 s6, s43
	v_cvt_f32_u32_e32 v1, s6
	s_mul_i32 s9, s33, s35
	s_sub_i32 s16, 0, s6
	s_sub_i32 s40, s4, s9
	v_rcp_iflag_f32_e32 v1, v1
	s_abs_i32 s8, s35
	s_xor_b32 s7, s35, s43
	s_ashr_i32 s7, s7, 31
	v_mul_f32_e32 v1, 0x4f7ffffe, v1
	v_cvt_u32_f32_e32 v1, v1
	s_load_dwordx4 s[12:15], s[0:1], 0x40
	s_load_dword s5, s[0:1], 0x50
	v_readfirstlane_b32 s4, v1
	s_mul_i32 s16, s16, s4
	s_mul_hi_u32 s9, s4, s16
	s_add_i32 s4, s4, s9
	s_mul_hi_u32 s4, s8, s4
	s_mul_i32 s9, s4, s6
	s_sub_i32 s8, s8, s9
	s_add_i32 s16, s4, 1
	s_sub_i32 s9, s8, s6
	s_cmp_ge_u32 s8, s6
	s_cselect_b32 s4, s16, s4
	s_cselect_b32 s8, s9, s8
	s_add_i32 s9, s4, 1
	s_cmp_ge_u32 s8, s6
	s_cselect_b32 s4, s9, s4
	s_xor_b32 s4, s4, s7
	s_sub_i32 s36, s4, s7
	s_abs_i32 s44, s36
	s_abs_i32 s10, s10
	v_cvt_f32_u32_e32 v2, s44
	v_cvt_f32_u32_e32 v1, s10
	s_sub_i32 s6, 0, s44
	s_sub_i32 s4, 0, s10
	v_rcp_iflag_f32_e32 v2, v2
	v_rcp_iflag_f32_e32 v1, v1
	s_abs_i32 s45, s40
	s_abs_i32 s43, s33
	v_mul_f32_e32 v2, 0x4f7ffffe, v2
	v_mul_f32_e32 v1, 0x4f7ffffe, v1
	v_cvt_u32_f32_e32 v2, v2
	v_cvt_u32_f32_e32 v1, v1
	v_readfirstlane_b32 s16, v2
	v_readfirstlane_b32 s17, v1
	s_mul_i32 s6, s6, s16
	s_mul_i32 s4, s4, s17
	s_mul_hi_u32 s6, s16, s6
	s_add_i32 s16, s16, s6
	s_mul_hi_u32 s4, s17, s4
	s_waitcnt lgkmcnt(0)
	v_cmp_le_f32_e64 s[6:7], s13, 0
	s_add_i32 s17, s17, s4
	s_and_b64 vcc, exec, s[6:7]
	s_cbranch_vccnz .LBB0_2
; %bb.1:
	s_sub_i32 s4, s40, s5
	s_lshl_b32 s4, s4, 1
	s_add_i32 s6, s40, 1
	s_or_b32 s7, s4, 1
	s_cmp_lt_u32 s40, s5
	s_cselect_b64 vcc, -1, 0
	s_and_b64 s[4:5], vcc, exec
	v_mov_b32_e32 v1, s15
	v_mov_b32_e32 v2, s14
	s_cselect_b32 s4, s6, s7
	v_cndmask_b32_e32 v18, v1, v2, vcc
	v_cvt_f32_i32_e32 v1, s4
	v_cmp_neq_f32_e32 vcc, 1.0, v18
	s_mov_b32 s4, 0x3f2aaaab
	s_movk_i32 s6, 0x204
	v_cndmask_b32_e32 v19, 1.0, v1, vcc
	v_cmp_eq_f32_e32 vcc, 0, v19
	s_mov_b32 s8, 0x42b17218
	s_mov_b32 s7, 0x7f800000
	v_cndmask_b32_e64 v20, |v18|, 1.0, vcc
	v_frexp_mant_f32_e32 v1, v20
	v_cmp_gt_f32_e64 s[4:5], s4, v1
	s_brev_b32 s13, -2
	s_nop 0
	v_cndmask_b32_e64 v2, 1.0, 2.0, s[4:5]
	v_mul_f32_e32 v1, v1, v2
	v_add_f32_e32 v2, 1.0, v1
	v_rcp_f32_e32 v10, v2
	v_add_f32_e32 v3, -1.0, v2
	v_sub_f32_e32 v5, v1, v3
	v_add_f32_e32 v3, -1.0, v1
	v_mul_f32_e32 v1, v3, v10
	v_mul_f32_e32 v4, v2, v1
	v_fma_f32 v6, v1, v2, -v4
	v_fmac_f32_e32 v6, v1, v5
	v_add_f32_e32 v2, v4, v6
	v_sub_f32_e32 v5, v3, v2
	v_pk_add_f32 v[8:9], v[2:3], v[4:5] neg_lo:[0,1] neg_hi:[0,1]
	v_mov_b32_e32 v7, v2
	v_pk_add_f32 v[2:3], v[8:9], v[6:7] neg_lo:[0,1] neg_hi:[0,1]
	v_mov_b32_e32 v6, 0x3e91f4c4
	v_add_f32_e32 v2, v2, v3
	v_add_f32_e32 v2, v5, v2
	v_mul_f32_e32 v3, v10, v2
	v_add_f32_e32 v2, v1, v3
	v_sub_f32_e32 v1, v2, v1
	v_sub_f32_e32 v1, v3, v1
	v_mul_f32_e32 v3, v2, v2
	v_fma_f32 v5, v2, v2, -v3
	v_add_f32_e32 v4, v1, v1
	v_fmac_f32_e32 v5, v2, v4
	v_add_f32_e32 v4, v3, v5
	v_fmac_f32_e32 v6, 0x3e76c4e1, v4
	v_fmaak_f32 v6, v4, v6, 0x3ecccdef
	v_sub_f32_e32 v3, v4, v3
	v_sub_f32_e32 v12, v5, v3
	v_mul_f32_e32 v3, v4, v6
	v_fma_f32 v5, v4, v6, -v3
	v_fmac_f32_e32 v5, v12, v6
	v_add_f32_e32 v6, v3, v5
	v_add_f32_e32 v7, 0x3f2aaaaa, v6
	v_sub_f32_e32 v3, v6, v3
	v_sub_f32_e32 v3, v5, v3
	v_add_f32_e32 v5, 0xbf2aaaaa, v7
	v_add_f32_e32 v3, 0x31739010, v3
	v_sub_f32_e32 v5, v6, v5
	v_pk_mul_f32 v[8:9], v[2:3], v[4:5]
	v_pk_add_f32 v[10:11], v[2:3], v[4:5]
	v_fma_f32 v6, v4, v2, -v8
	v_fmac_f32_e32 v6, v4, v1
	v_mov_b32_e32 v9, v11
	v_fmac_f32_e32 v6, v12, v2
	v_pk_add_f32 v[4:5], v[8:9], v[6:7]
	v_ldexp_f32 v1, v1, 1
	v_sub_f32_e32 v3, v4, v8
	v_sub_f32_e32 v3, v6, v3
	;; [unrolled: 1-line block ×3, first 2 shown]
	v_add_f32_e32 v9, v11, v6
	v_mov_b32_e32 v6, v5
	v_pk_mul_f32 v[6:7], v[4:5], v[6:7]
	v_cvt_f64_f32_e32 v[10:11], v20
	v_frexp_exp_i32_f64_e32 v7, v[10:11]
	v_subbrev_co_u32_e64 v7, s[4:5], 0, v7, s[4:5]
	v_cvt_f32_i32_e32 v7, v7
	v_fma_f32 v8, v4, v5, -v6
	v_fmac_f32_e32 v8, v4, v9
	s_mov_b32 s4, 0x3f317218
	v_mul_f32_e32 v4, 0x3f317218, v7
	v_fmac_f32_e32 v8, v3, v5
	v_fma_f32 v3, v7, s4, -v4
	v_fmamk_f32 v10, v7, 0xb102e308, v3
	v_ldexp_f32 v11, v2, 1
	v_add_f32_e32 v5, v6, v8
	v_pk_add_f32 v[2:3], v[4:5], v[10:11]
	v_mov_b32_e32 v12, v5
	v_mov_b32_e32 v13, v3
	;; [unrolled: 1-line block ×3, first 2 shown]
	v_pk_add_f32 v[6:7], v[12:13], v[6:7] neg_lo:[0,1] neg_hi:[0,1]
	v_mov_b32_e32 v9, v5
	v_pk_add_f32 v[6:7], v[8:9], v[6:7] neg_lo:[0,1] neg_hi:[0,1]
	v_mov_b32_e32 v11, v2
	v_add_f32_e32 v1, v1, v6
	v_add_f32_e32 v5, v1, v7
	v_pk_add_f32 v[6:7], v[2:3], v[4:5] neg_lo:[0,1] neg_hi:[0,1]
	v_pk_add_f32 v[8:9], v[2:3], v[4:5]
	v_mov_b32_e32 v12, v6
	v_mov_b32_e32 v13, v9
	v_pk_add_f32 v[12:13], v[10:11], v[12:13]
	v_pk_add_f32 v[6:7], v[10:11], v[6:7] neg_lo:[0,1] neg_hi:[0,1]
	v_mov_b32_e32 v4, v13
	v_pk_add_f32 v[14:15], v[4:5], v[2:3] neg_lo:[0,1] neg_hi:[0,1]
	v_mov_b32_e32 v12, v9
	v_mov_b32_e32 v1, v14
	;; [unrolled: 1-line block ×4, first 2 shown]
	v_pk_add_f32 v[16:17], v[8:9], v[0:1] neg_lo:[0,1] neg_hi:[0,1]
	v_pk_add_f32 v[2:3], v[12:13], v[2:3] neg_lo:[0,1] neg_hi:[0,1]
	v_mov_b32_e32 v10, v5
	v_pk_add_f32 v[2:3], v[10:11], v[2:3] neg_lo:[0,1] neg_hi:[0,1]
	v_mov_b32_e32 v16, v6
	v_pk_add_f32 v[8:9], v[16:17], v[2:3]
	v_mov_b32_e32 v7, v13
	v_mov_b32_e32 v10, v9
	v_pk_add_f32 v[10:11], v[8:9], v[10:11]
	s_nop 0
	v_pk_add_f32 v[4:5], v[4:5], v[10:11]
	v_mov_b32_e32 v3, v10
	v_mov_b32_e32 v9, v4
	v_pk_add_f32 v[12:13], v[8:9], v[6:7] neg_lo:[0,1] neg_hi:[0,1]
	s_nop 0
	v_sub_f32_e32 v1, v8, v12
	v_pk_add_f32 v[2:3], v[2:3], v[12:13] neg_lo:[0,1] neg_hi:[0,1]
	v_sub_f32_e32 v1, v6, v1
	v_add_f32_e32 v1, v2, v1
	v_add_f32_e32 v1, v1, v3
	;; [unrolled: 1-line block ×3, first 2 shown]
	v_sub_f32_e32 v3, v2, v4
	v_sub_f32_e32 v1, v1, v3
	v_mul_f32_e32 v3, v19, v2
	v_fma_f32 v2, v19, v2, -v3
	v_fmac_f32_e32 v2, v19, v1
	v_add_f32_e32 v1, v3, v2
	v_cmp_class_f32_e64 s[4:5], v3, s6
	v_sub_f32_e32 v4, v1, v3
	v_sub_f32_e32 v2, v2, v4
	v_cndmask_b32_e64 v1, v1, v3, s[4:5]
	v_mov_b32_e32 v3, 0x37000000
	v_cmp_eq_f32_e64 s[4:5], s8, v1
	s_nop 1
	v_cndmask_b32_e64 v3, 0, v3, s[4:5]
	v_sub_f32_e32 v4, v1, v3
	s_mov_b32 s4, 0x3fb8aa3b
	v_mul_f32_e32 v5, 0x3fb8aa3b, v4
	v_fma_f32 v6, v4, s4, -v5
	v_rndne_f32_e32 v7, v5
	v_fmamk_f32 v6, v4, 0x32a5705f, v6
	v_sub_f32_e32 v5, v5, v7
	v_add_f32_e32 v5, v5, v6
	v_exp_f32_e32 v5, v5
	v_cvt_i32_f32_e32 v6, v7
	v_cmp_neq_f32_e64 s[4:5], |v1|, s7
	s_nop 1
	v_cndmask_b32_e64 v1, 0, v2, s[4:5]
	s_mov_b32 s4, 0xc2ce8ed0
	v_ldexp_f32 v2, v5, v6
	v_cmp_ngt_f32_e64 s[4:5], s4, v4
	v_add_f32_e32 v1, v3, v1
	v_mov_b32_e32 v3, 0x7f800000
	v_cndmask_b32_e64 v2, 0, v2, s[4:5]
	v_cmp_nlt_f32_e64 s[4:5], s8, v4
	v_trunc_f32_e32 v4, v19
	v_mov_b32_e32 v5, 0x7fc00000
	v_cndmask_b32_e64 v2, v3, v2, s[4:5]
	v_fma_f32 v1, v2, v1, v2
	v_cmp_class_f32_e64 s[4:5], v2, s6
	v_cmp_gt_f32_e64 s[8:9], 0, v19
	s_nop 0
	v_cndmask_b32_e64 v1, v1, v2, s[4:5]
	v_cndmask_b32_e64 v2, v18, 1.0, vcc
	v_cmp_eq_f32_e32 vcc, v4, v19
	v_mul_f32_e32 v4, 0.5, v19
	v_trunc_f32_e32 v6, v4
	v_cmp_neq_f32_e64 s[4:5], v6, v4
	s_and_b64 s[4:5], vcc, s[4:5]
	s_nop 0
	v_cndmask_b32_e64 v4, 1.0, v2, s[4:5]
	v_bfi_b32 v1, s13, v1, v4
	v_cndmask_b32_e32 v4, v5, v1, vcc
	v_cmp_gt_f32_e32 vcc, 0, v2
	s_nop 1
	v_cndmask_b32_e32 v1, v1, v4, vcc
	v_cmp_eq_f32_e32 vcc, s7, v20
	v_cmp_eq_f32_e64 s[6:7], 0, v2
	s_xor_b64 s[8:9], s[8:9], s[6:7]
	v_cndmask_b32_e64 v3, v3, 0, s[8:9]
	v_cndmask_b32_e64 v4, 0, v2, s[4:5]
	v_bfi_b32 v3, s13, v3, v4
	s_or_b64 vcc, vcc, s[6:7]
	v_cndmask_b32_e32 v1, v1, v3, vcc
	v_cmp_o_f32_e32 vcc, v2, v2
	s_nop 1
	v_cndmask_b32_e32 v49, v5, v1, vcc
.LBB0_2:
	s_mul_hi_u32 s9, s45, s16
	s_mul_hi_u32 s8, s43, s17
	s_load_dwordx16 s[16:31], s[0:1], 0x0
	v_bfe_u32 v46, v0, 10, 10
	v_and_b32_e32 v47, 0x3ff, v0
	v_cmp_eq_u32_e64 s[14:15], 0, v46
	v_lshlrev_b32_e32 v4, 4, v47
	s_and_saveexec_b64 s[4:5], s[14:15]
	s_cbranch_execz .LBB0_15
; %bb.3:
	s_load_dwordx4 s[48:51], s[0:1], 0x70
	v_mov_b32_e32 v5, 0
	v_cmp_gt_u32_e32 vcc, 16, v47
	v_mov_b32_e32 v6, 0
	s_waitcnt lgkmcnt(0)
	s_mul_i32 s6, s33, s50
	s_mul_i32 s13, s2, s48
	;; [unrolled: 1-line block ×3, first 2 shown]
	s_add_i32 s6, s6, s13
	s_add_i32 s6, s6, s7
	s_ashr_i32 s7, s6, 31
	s_add_u32 s6, s16, s6
	s_addc_u32 s7, s17, s7
	v_lshl_add_u64 v[0:1], s[6:7], 0, v[4:5]
	s_and_saveexec_b64 s[6:7], vcc
	s_cbranch_execz .LBB0_5
; %bb.4:
	global_load_dword v2, v[0:1], off
	s_waitcnt vmcnt(0)
	v_mul_f32_e32 v6, s12, v2
.LBB0_5:
	s_or_b64 exec, exec, s[6:7]
	s_and_saveexec_b64 s[6:7], vcc
	s_cbranch_execz .LBB0_7
; %bb.6:
	global_load_dword v2, v[0:1], off offset:4
	s_waitcnt vmcnt(0)
	v_mul_f32_e32 v5, s12, v2
.LBB0_7:
	s_or_b64 exec, exec, s[6:7]
	v_mov_b32_e32 v2, 0
	v_mov_b32_e32 v3, 0
	s_and_saveexec_b64 s[6:7], vcc
	s_cbranch_execz .LBB0_9
; %bb.8:
	global_load_dword v3, v[0:1], off offset:8
	s_waitcnt vmcnt(0)
	v_mul_f32_e32 v3, s12, v3
.LBB0_9:
	s_or_b64 exec, exec, s[6:7]
	s_and_saveexec_b64 s[6:7], vcc
	s_cbranch_execz .LBB0_11
; %bb.10:
	global_load_dword v0, v[0:1], off offset:12
	s_waitcnt vmcnt(0)
	v_mul_f32_e32 v2, s12, v0
.LBB0_11:
	s_or_b64 exec, exec, s[6:7]
	v_mbcnt_lo_u32_b32 v0, -1, 0
	v_mbcnt_hi_u32_b32 v0, -1, v0
	v_and_b32_e32 v1, 0x60, v0
	v_add_u32_e32 v1, 32, v1
	v_xor_b32_e32 v7, 4, v0
	v_cmp_lt_i32_e32 vcc, v7, v1
	v_max_f32_e64 v9, |v5|, |v5|
	v_max_f32_e64 v10, |v6|, |v6|
	v_cndmask_b32_e32 v7, v0, v7, vcc
	v_max_f32_e32 v9, v10, v9
	v_lshlrev_b32_e32 v7, 2, v7
	v_max3_f32 v9, v9, |v3|, |v2|
	ds_bpermute_b32 v10, v7, v9
	v_xor_b32_e32 v8, 2, v0
	v_cmp_lt_i32_e32 vcc, v8, v1
	v_xor_b32_e32 v11, 1, v0
	s_mov_b32 s12, 0x42fe0000
	v_cndmask_b32_e32 v8, v0, v8, vcc
	v_cmp_lt_i32_e32 vcc, v11, v1
	s_waitcnt lgkmcnt(0)
	v_max_f32_e32 v1, v10, v10
	v_lshlrev_b32_e32 v8, 2, v8
	v_max_f32_e32 v1, v9, v1
	ds_bpermute_b32 v9, v8, v1
	v_add_f32_e32 v10, v6, v5
	v_add_f32_e32 v10, v10, v3
	v_cndmask_b32_e32 v0, v0, v11, vcc
	v_add_f32_e32 v10, v10, v2
	s_waitcnt lgkmcnt(0)
	v_max_f32_e32 v9, v9, v9
	v_lshlrev_b32_e32 v0, 2, v0
	ds_bpermute_b32 v7, v7, v10
	v_max_f32_e32 v1, v1, v9
	ds_bpermute_b32 v9, v0, v1
	s_waitcnt lgkmcnt(1)
	v_add_f32_e32 v7, v10, v7
	ds_bpermute_b32 v10, v8, v7
	s_waitcnt lgkmcnt(1)
	v_max_f32_e32 v8, v9, v9
	v_max_f32_e32 v9, v1, v8
	v_div_scale_f32 v11, s[6:7], s12, s12, v9
	v_rcp_f32_e32 v12, v11
	s_waitcnt lgkmcnt(0)
	v_add_f32_e32 v1, v7, v10
	ds_bpermute_b32 v7, v0, v1
	v_mov_b32_e32 v8, 0
	v_fma_f32 v0, -v11, v12, 1.0
	v_fmac_f32_e32 v12, v0, v12
	v_div_scale_f32 v0, vcc, v9, s12, v9
	v_mul_f32_e32 v10, v0, v12
	v_fma_f32 v13, -v11, v10, v0
	v_fmac_f32_e32 v10, v13, v12
	v_fma_f32 v0, -v11, v10, v0
	v_div_fmas_f32 v0, v0, v12, v10
	v_div_fixup_f32 v0, v0, s12, v9
	v_cmp_neq_f32_e32 vcc, 0, v0
	s_and_saveexec_b64 s[6:7], vcc
	s_cbranch_execz .LBB0_13
; %bb.12:
	v_div_scale_f32 v8, s[12:13], v0, v0, v6
	v_rcp_f32_e32 v9, v8
	v_div_scale_f32 v10, vcc, v6, v0, v6
	s_brev_b32 s16, -2
	v_fma_f32 v11, -v8, v9, 1.0
	v_fmac_f32_e32 v9, v11, v9
	v_mul_f32_e32 v11, v10, v9
	v_fma_f32 v12, -v8, v11, v10
	v_fmac_f32_e32 v11, v12, v9
	v_fma_f32 v8, -v8, v11, v10
	v_div_fmas_f32 v8, v8, v9, v11
	v_div_fixup_f32 v6, v8, v0, v6
	v_trunc_f32_e32 v8, v6
	v_sub_f32_e32 v9, v6, v8
	v_cmp_ge_f32_e64 s[12:13], |v9|, 0.5
	s_nop 1
	v_cndmask_b32_e64 v9, 0, 1.0, s[12:13]
	v_div_scale_f32 v10, s[12:13], v0, v0, v5
	v_rcp_f32_e32 v11, v10
	v_bfi_b32 v6, s16, v9, v6
	v_add_f32_e32 v6, v8, v6
	v_cvt_i32_f32_e32 v6, v6
	v_fma_f32 v8, -v10, v11, 1.0
	v_fmac_f32_e32 v11, v8, v11
	v_div_scale_f32 v8, vcc, v5, v0, v5
	v_mul_f32_e32 v9, v8, v11
	v_fma_f32 v12, -v10, v9, v8
	v_fmac_f32_e32 v9, v12, v11
	v_fma_f32 v8, -v10, v9, v8
	v_div_fmas_f32 v8, v8, v11, v9
	v_div_fixup_f32 v5, v8, v0, v5
	v_trunc_f32_e32 v8, v5
	v_div_scale_f32 v10, s[12:13], v0, v0, v3
	v_sub_f32_e32 v9, v5, v8
	v_rcp_f32_e32 v11, v10
	v_cmp_ge_f32_e64 s[12:13], |v9|, 0.5
	s_nop 1
	v_cndmask_b32_e64 v9, 0, 1.0, s[12:13]
	v_bfi_b32 v5, s16, v9, v5
	v_add_f32_e32 v5, v8, v5
	v_fma_f32 v8, -v10, v11, 1.0
	v_fmac_f32_e32 v11, v8, v11
	v_div_scale_f32 v8, vcc, v3, v0, v3
	v_mul_f32_e32 v9, v8, v11
	v_fma_f32 v12, -v10, v9, v8
	v_fmac_f32_e32 v9, v12, v11
	v_fma_f32 v8, -v10, v9, v8
	v_div_fmas_f32 v8, v8, v11, v9
	v_div_fixup_f32 v3, v8, v0, v3
	v_trunc_f32_e32 v8, v3
	v_sub_f32_e32 v9, v3, v8
	v_cmp_ge_f32_e64 s[12:13], |v9|, 0.5
	v_cvt_i32_f32_e32 v5, v5
	s_nop 0
	v_cndmask_b32_e64 v9, 0, 1.0, s[12:13]
	v_div_scale_f32 v10, s[12:13], v0, v0, v2
	v_rcp_f32_e32 v11, v10
	v_bfi_b32 v3, s16, v9, v3
	v_add_f32_e32 v3, v8, v3
	v_cvt_i32_f32_e32 v3, v3
	v_fma_f32 v8, -v10, v11, 1.0
	v_fmac_f32_e32 v11, v8, v11
	v_div_scale_f32 v8, vcc, v2, v0, v2
	v_mul_f32_e32 v9, v8, v11
	v_fma_f32 v12, -v10, v9, v8
	v_fmac_f32_e32 v9, v12, v11
	v_fma_f32 v8, -v10, v9, v8
	v_div_fmas_f32 v8, v8, v11, v9
	v_div_fixup_f32 v2, v8, v0, v2
	v_trunc_f32_e32 v8, v2
	v_sub_f32_e32 v9, v2, v8
	v_cmp_ge_f32_e64 s[12:13], |v9|, 0.5
	v_and_b32_e32 v3, 0xff, v3
	v_lshlrev_b32_e32 v3, 16, v3
	v_cndmask_b32_e64 v9, 0, 1.0, s[12:13]
	v_bfi_b32 v2, s16, v9, v2
	v_add_f32_e32 v2, v8, v2
	v_cvt_i32_f32_e32 v2, v2
	v_lshl_or_b32 v2, v2, 24, v3
	v_mov_b32_e32 v3, 8
	v_lshlrev_b32_sdwa v3, v3, v5 dst_sel:DWORD dst_unused:UNUSED_PAD src0_sel:DWORD src1_sel:BYTE_0
	v_and_b32_e32 v5, 0xff, v6
	v_or3_b32 v8, v2, v3, v5
.LBB0_13:
	s_or_b64 exec, exec, s[6:7]
	v_and_b32_e32 v3, 0x77, v47
	v_lshlrev_b32_e32 v2, 2, v47
	v_cmp_eq_u32_e32 vcc, 0, v3
	ds_write_b32 v2, v8
	s_and_b64 exec, exec, vcc
	s_cbranch_execz .LBB0_15
; %bb.14:
	s_waitcnt lgkmcnt(1)
	v_add_f32_e32 v1, v1, v7
	ds_write_b64 v47, v[0:1] offset:64
.LBB0_15:
	s_or_b64 exec, exec, s[4:5]
	v_and_b32_e32 v10, 3, v47
	v_lshlrev_b32_e32 v0, 2, v10
	v_mov_b32_e32 v44, 0
	s_waitcnt lgkmcnt(0)
	s_barrier
	ds_read2_b32 v[6:7], v0 offset1:4
	ds_read2_b32 v[8:9], v0 offset0:8 offset1:12
	ds_read_b128 v[0:3], v44 offset:64
	s_ashr_i32 s41, s40, 31
	s_ashr_i32 s4, s36, 31
	;; [unrolled: 1-line block ×3, first 2 shown]
	s_cmp_eq_u64 s[26:27], 0
	s_waitcnt lgkmcnt(0)
	s_barrier
	s_cbranch_scc1 .LBB0_17
; %bb.16:
	s_load_dword s5, s[0:1], 0xd0
	s_mov_b32 s7, 0
	s_waitcnt lgkmcnt(0)
	s_mul_i32 s5, s5, s33
	s_add_i32 s6, s5, s2
	s_lshl_b64 s[6:7], s[6:7], 2
	s_add_u32 s6, s26, s6
	s_addc_u32 s7, s27, s7
	s_load_dword s42, s[6:7], 0x0
.LBB0_17:
	v_lshlrev_b32_e32 v28, 5, v46
	v_add_u32_e32 v5, v28, v47
	s_lshl_b32 s16, s3, 7
	s_mov_b32 s27, 0
	s_waitcnt lgkmcnt(0)
	s_cmp_ge_i32 s16, s42
	v_mov_b32_e32 v60, 0xfeffffff
	v_mov_b32_e32 v63, 0
	v_lshlrev_b32_e32 v50, 2, v47
	v_mbcnt_lo_u32_b32 v51, -1, 0
	v_lshlrev_b32_e32 v48, 1, v5
	v_mov_b32_e32 v64, 0
	v_mov_b32_e32 v65, 0
	;; [unrolled: 1-line block ×3, first 2 shown]
	s_cbranch_scc1 .LBB0_29
; %bb.18:
	s_load_dwordx4 s[36:39], s[0:1], 0x98
	s_load_dwordx2 s[58:59], s[0:1], 0x8c
	s_xor_b32 s4, s41, s4
	s_mul_i32 s8, s8, s10
	v_and_b32_e32 v11, 0x7c, v47
	s_waitcnt lgkmcnt(0)
	s_mul_i32 s6, s33, s37
	s_mul_i32 s7, s60, s36
	s_mul_hi_u32 s5, s33, s36
	s_add_i32 s62, s6, s7
	s_add_i32 s64, s62, s5
	s_mul_i32 s5, s9, s44
	s_sub_i32 s5, s45, s5
	s_add_i32 s6, s9, 1
	s_sub_i32 s7, s5, s44
	s_cmp_ge_u32 s5, s44
	s_cselect_b32 s6, s6, s9
	s_cselect_b32 s5, s7, s5
	s_add_i32 s7, s6, 1
	s_cmp_ge_u32 s5, s44
	s_cselect_b32 s5, s7, s6
	s_xor_b32 s5, s5, s4
	s_sub_i32 s4, s5, s4
	s_mul_i32 s54, s4, s59
	s_mul_i32 s12, s4, s39
	s_sub_i32 s4, s43, s8
	s_ashr_i32 s55, s54, 31
	s_ashr_i32 s13, s12, 31
	s_sub_i32 s5, s4, s10
	s_cmp_ge_u32 s4, s10
	s_cselect_b32 s4, s5, s4
	s_sub_i32 s5, s4, s10
	s_cmp_ge_u32 s4, s10
	s_cselect_b32 s6, s5, s4
	s_load_dwordx2 s[56:57], s[0:1], 0xa8
	s_load_dwordx2 s[4:5], s[0:1], 0xc8
	v_add_u32_e32 v16, v28, v11
	v_mbcnt_hi_u32_b32 v11, -1, v51
	v_and_b32_e32 v12, 0x7c, v11
	v_add_u32_e32 v12, 4, v12
	v_xor_b32_e32 v13, 2, v11
	s_xor_b32 s6, s6, s60
	v_cmp_lt_i32_e32 vcc, v13, v12
	s_sub_i32 s6, s6, s60
	s_load_dword s8, s[0:1], 0xd4
	v_cndmask_b32_e32 v13, v11, v13, vcc
	s_ashr_i32 s7, s6, 31
	s_waitcnt lgkmcnt(0)
	s_mul_i32 s5, s6, s5
	s_mul_hi_u32 s9, s6, s4
	v_lshlrev_b32_e32 v52, 2, v13
	v_xor_b32_e32 v13, 1, v11
	s_add_i32 s5, s9, s5
	s_mul_i32 s7, s7, s4
	s_mul_i32 s65, s2, s11
	v_cmp_lt_i32_e32 vcc, v13, v12
	s_add_i32 s39, s5, s7
	s_ashr_i32 s66, s65, 31
	v_cndmask_b32_e32 v12, v11, v13, vcc
	v_lshlrev_b32_e32 v53, 2, v12
	s_cmp_lg_u64 s[22:23], 0
	v_and_b32_e32 v12, 0x60, v11
	s_mul_i32 s43, s6, s4
	s_cselect_b64 s[46:47], -1, 0
	v_add_u32_e32 v14, 32, v12
	s_lshl_b32 s48, s8, 7
	v_cmp_eq_u32_e64 s[4:5], 3, v10
	v_cmp_eq_u32_e64 s[6:7], 0, v10
	;; [unrolled: 1-line block ×4, first 2 shown]
	v_xor_b32_e32 v10, 4, v11
	v_cmp_lt_i32_e32 vcc, v10, v14
	v_lshrrev_b32_e32 v29, 3, v47
	v_and_b32_e32 v44, 12, v50
	v_cndmask_b32_e32 v10, v11, v10, vcc
	v_lshlrev_b32_e32 v54, 2, v10
	v_xor_b32_e32 v10, 8, v11
	v_cmp_lt_i32_e32 vcc, v10, v14
	v_mov_b32_e32 v45, 0
	s_mul_i32 s61, s33, s36
	v_cndmask_b32_e32 v10, v11, v10, vcc
	v_lshlrev_b32_e32 v55, 2, v10
	v_xor_b32_e32 v10, 16, v11
	v_cmp_lt_i32_e32 vcc, v10, v14
	v_mul_lo_u32 v26, v16, s58
	v_add_u32_e32 v22, s58, v26
	v_cndmask_b32_e32 v10, v11, v10, vcc
	v_lshlrev_b32_e32 v56, 2, v10
	v_or_b32_e32 v10, v28, v29
	v_lshlrev_b32_e32 v57, 1, v10
	v_mov_b32_e32 v10, s36
	v_mad_u64_u32 v[24:25], s[36:37], s33, v10, v[44:45]
	s_add_u32 s36, s18, s54
	v_add_u32_e32 v18, s58, v22
	s_addc_u32 s37, s19, s55
	s_mov_b32 s17, s27
	s_mul_i32 s44, s16, s58
	s_mul_i32 s50, s48, s58
	v_add_u32_e32 v12, s58, v18
	s_add_u32 s58, s36, s61
	v_add_u32_e32 v25, s62, v25
	s_addc_u32 s59, s37, s64
	s_lshl_b64 s[62:63], s[16:17], 1
	s_add_u32 s17, s43, s62
	s_addc_u32 s39, s39, s63
	s_add_u32 s22, s22, s65
	s_addc_u32 s23, s23, s66
	s_add_u32 s22, s22, s17
	s_mov_b32 s49, s27
	v_lshlrev_b32_e32 v44, 1, v16
	s_addc_u32 s23, s23, s39
	v_ashrrev_i32_e32 v23, 31, v22
	v_ashrrev_i32_e32 v19, 31, v18
	v_ashrrev_i32_e32 v13, 31, v12
	v_lshl_add_u64 v[16:17], s[22:23], 0, v[44:45]
	s_lshl_b64 s[22:23], s[48:49], 1
	v_ashrrev_i32_e32 v27, 31, v26
	v_lshl_add_u64 v[10:11], v[24:25], 0, v[12:13]
	v_lshl_add_u64 v[14:15], v[24:25], 0, v[18:19]
	;; [unrolled: 1-line block ×4, first 2 shown]
	s_add_u32 s17, s61, s54
	v_lshl_add_u64 v[10:11], s[36:37], 0, v[10:11]
	v_lshl_add_u64 v[14:15], s[36:37], 0, v[14:15]
	;; [unrolled: 1-line block ×4, first 2 shown]
	s_addc_u32 s36, s64, s55
	v_lshl_add_u64 v[24:25], s[18:19], 0, v[24:25]
	s_add_u32 s18, s18, s17
	v_and_b32_e32 v30, 7, v47
	s_addc_u32 s19, s19, s36
	v_lshlrev_b32_e32 v44, 4, v30
	s_mul_i32 s17, s33, s57
	s_mul_i32 s60, s60, s56
	v_mov_b32_e32 v30, s56
	v_lshl_add_u64 v[26:27], s[18:19], 0, v[26:27]
	s_add_i32 s17, s17, s60
	v_mad_u64_u32 v[42:43], s[18:19], s33, v30, v[44:45]
	v_add_u32_e32 v44, v29, v28
	v_add_u32_e32 v43, s17, v43
	v_mul_lo_u32 v28, s38, v44
	v_lshl_add_u64 v[30:31], v[42:43], 0, s[12:13]
	v_ashrrev_i32_e32 v29, 31, v28
	v_lshl_add_u64 v[28:29], v[30:31], 0, v[28:29]
	v_add_u32_e32 v30, 28, v44
	v_add_u32_e32 v32, 4, v44
	;; [unrolled: 1-line block ×7, first 2 shown]
	v_mul_lo_u32 v30, s38, v30
	v_mul_lo_u32 v32, s38, v32
	;; [unrolled: 1-line block ×7, first 2 shown]
	v_ashrrev_i32_e32 v31, 31, v30
	s_add_u32 s12, s20, s12
	v_ashrrev_i32_e32 v33, 31, v32
	v_ashrrev_i32_e32 v35, 31, v34
	;; [unrolled: 1-line block ×6, first 2 shown]
	v_lshl_add_u64 v[30:31], v[42:43], 0, v[30:31]
	s_addc_u32 s13, s21, s13
	v_lshl_add_u64 v[32:33], v[42:43], 0, v[32:33]
	v_lshl_add_u64 v[34:35], v[42:43], 0, v[34:35]
	v_lshl_add_u64 v[36:37], v[42:43], 0, v[36:37]
	v_lshl_add_u64 v[38:39], v[42:43], 0, v[38:39]
	v_lshl_add_u64 v[40:41], v[42:43], 0, v[40:41]
	v_lshl_add_u64 v[42:43], v[42:43], 0, v[58:59]
	s_mul_i32 s26, s16, s38
	s_mov_b32 s45, s27
	s_mov_b32 s51, s27
	s_mul_i32 s52, s48, s38
	s_mov_b32 s53, s27
	v_lshl_add_u64 v[12:13], s[58:59], 0, v[12:13]
	v_lshl_add_u64 v[16:17], v[16:17], 0, 6
	v_lshl_add_u64 v[18:19], s[58:59], 0, v[18:19]
	v_lshl_add_u64 v[22:23], s[58:59], 0, v[22:23]
	v_lshl_add_u64 v[26:27], v[26:27], 0, 18
	v_lshl_add_u64 v[28:29], s[20:21], 0, v[28:29]
	v_lshl_add_u64 v[30:31], s[12:13], 0, v[30:31]
	v_lshl_add_u64 v[32:33], s[12:13], 0, v[32:33]
	v_lshl_add_u64 v[34:35], s[12:13], 0, v[34:35]
	v_lshl_add_u64 v[36:37], s[12:13], 0, v[36:37]
	v_lshl_add_u64 v[38:39], s[12:13], 0, v[38:39]
	v_lshl_add_u64 v[40:41], s[12:13], 0, v[40:41]
	v_lshl_add_u64 v[42:43], s[12:13], 0, v[42:43]
	v_mov_b32_e32 v61, 0xfeffffff
	s_mov_b32 s17, 0x3fb8aa3b
	s_mov_b32 s18, 0xc2ce8ed0
	;; [unrolled: 1-line block ×3, first 2 shown]
	v_mov_b32_e32 v58, 0x7f800000
	v_mov_b32_e32 v65, v45
	;; [unrolled: 1-line block ×5, first 2 shown]
                                        ; implicit-def: $vgpr59
.LBB0_19:                               ; =>This Inner Loop Header: Depth=1
	v_lshl_add_u64 v[68:69], v[24:25], 0, s[44:45]
	global_load_dword v60, v[68:69], off offset:2
	v_lshl_add_u64 v[66:67], v[26:27], 0, s[44:45]
	v_mov_b32_e32 v70, 0
	v_mov_b32_e32 v71, 0
	s_and_b64 vcc, exec, s[46:47]
	s_waitcnt vmcnt(0)
	v_and_b32_e32 v62, 0xf0f0f0f, v60
	v_dot4c_i32_i8_e32 v70, v62, v6
	global_load_ushort v62, v[66:67], off offset:-18
	v_lshrrev_b32_e32 v60, 4, v60
	v_and_b32_e32 v60, 0xf0f0f0f, v60
	v_cvt_f32_i32_e32 v70, v70
	v_dot4c_i32_i8_e32 v71, v60, v7
	global_load_ushort v66, v[66:67], off
	v_fma_f32 v70, v0, v70, -v1
	s_nop 0
	v_cvt_f32_i32_e32 v60, v71
	v_fma_f32 v60, v0, v60, -v1
	s_waitcnt vmcnt(1)
	v_fma_mix_f32 v70, v70, v62, 0 op_sel_hi:[0,1,0]
	v_fma_mix_f32 v60, v60, v62, v70 op_sel_hi:[0,1,0]
	global_load_dword v62, v[68:69], off offset:20
	v_mov_b32_e32 v69, 0
	s_waitcnt vmcnt(0)
	v_and_b32_e32 v68, 0xf0f0f0f, v62
	v_dot4c_i32_i8_e32 v69, v68, v8
	v_lshrrev_b32_e32 v62, 4, v62
	v_and_b32_e32 v62, 0xf0f0f0f, v62
	s_nop 0
	v_cvt_f32_i32_e32 v67, v69
	v_fma_f32 v67, v2, v67, -v3
	v_fma_mix_f32 v60, v67, v66, v60 op_sel_hi:[0,1,0]
	v_mov_b32_e32 v67, 0
	v_dot4c_i32_i8_e32 v67, v62, v9
	s_nop 2
	v_cvt_f32_i32_e32 v62, v67
	v_fma_f32 v62, v2, v62, -v3
	v_fma_mix_f32 v60, v62, v66, v60 op_sel_hi:[0,1,0]
	ds_bpermute_b32 v62, v52, v60
	s_waitcnt lgkmcnt(0)
	v_add_f32_e32 v60, v60, v62
	ds_bpermute_b32 v62, v53, v60
	s_waitcnt lgkmcnt(0)
	v_add_f32_e32 v60, v60, v62
	s_cbranch_vccz .LBB0_21
; %bb.20:                               ;   in Loop: Header=BB0_19 Depth=1
	global_load_ushort v62, v[16:17], off offset:-6
	s_waitcnt vmcnt(0)
	v_fma_mix_f32 v60, v49, v62, v60 op_sel_hi:[0,1,0]
.LBB0_21:                               ;   in Loop: Header=BB0_19 Depth=1
	v_lshl_add_u64 v[66:67], v[20:21], 0, s[44:45]
	global_load_dword v62, v[66:67], off offset:2
	global_load_dword v68, v[66:67], off offset:20
	v_lshl_add_u64 v[66:67], v[22:23], 0, s[44:45]
	global_load_ushort v69, v[66:67], off
	global_load_ushort v70, v[66:67], off offset:18
	v_mov_b32_e32 v66, 0
	v_mov_b32_e32 v67, 0
	;; [unrolled: 1-line block ×4, first 2 shown]
	s_andn2_b64 vcc, exec, s[46:47]
	s_waitcnt vmcnt(3)
	v_and_b32_e32 v73, 0xf0f0f0f, v62
	v_lshrrev_b32_e32 v62, 4, v62
	v_dot4c_i32_i8_e32 v66, v73, v6
	v_and_b32_e32 v62, 0xf0f0f0f, v62
	s_waitcnt vmcnt(2)
	v_and_b32_e32 v74, 0xf0f0f0f, v68
	v_lshrrev_b32_e32 v68, 4, v68
	v_cvt_f32_i32_e32 v66, v66
	v_dot4c_i32_i8_e32 v67, v62, v7
	v_dot4c_i32_i8_e32 v71, v74, v8
	v_and_b32_e32 v68, 0xf0f0f0f, v68
	v_dot4c_i32_i8_e32 v72, v68, v9
	v_cvt_f32_i32_e32 v67, v67
	v_cvt_f32_i32_e32 v62, v71
	v_fma_f32 v66, v0, v66, -v1
	v_cvt_f32_i32_e32 v68, v72
	s_waitcnt vmcnt(1)
	v_fma_mix_f32 v66, v66, v69, 0 op_sel_hi:[0,1,0]
	v_fma_f32 v67, v0, v67, -v1
	v_fma_f32 v62, v2, v62, -v3
	v_fma_mix_f32 v66, v67, v69, v66 op_sel_hi:[0,1,0]
	s_waitcnt vmcnt(0)
	v_fma_mix_f32 v62, v62, v70, v66 op_sel_hi:[0,1,0]
	v_fma_f32 v66, v2, v68, -v3
	v_fma_mix_f32 v62, v66, v70, v62 op_sel_hi:[0,1,0]
	ds_bpermute_b32 v66, v52, v62
	v_cndmask_b32_e64 v67, 0, 1, s[46:47]
	v_cmp_ne_u32_e64 s[12:13], 1, v67
	s_waitcnt lgkmcnt(0)
	v_add_f32_e32 v62, v62, v66
	ds_bpermute_b32 v66, v53, v62
	s_waitcnt lgkmcnt(0)
	v_add_f32_e32 v62, v62, v66
	s_cbranch_vccnz .LBB0_23
; %bb.22:                               ;   in Loop: Header=BB0_19 Depth=1
	global_load_ushort v66, v[16:17], off offset:-4
	s_waitcnt vmcnt(0)
	v_fma_mix_f32 v62, v49, v66, v62 op_sel_hi:[0,1,0]
.LBB0_23:                               ;   in Loop: Header=BB0_19 Depth=1
	v_lshl_add_u64 v[66:67], v[14:15], 0, s[44:45]
	global_load_dword v68, v[66:67], off offset:2
	global_load_dword v69, v[66:67], off offset:20
	v_lshl_add_u64 v[66:67], v[18:19], 0, s[44:45]
	global_load_ushort v70, v[66:67], off
	global_load_ushort v71, v[66:67], off offset:18
	v_mov_b32_e32 v66, 0
	v_mov_b32_e32 v67, 0
	;; [unrolled: 1-line block ×4, first 2 shown]
	s_and_b64 vcc, exec, s[12:13]
	s_waitcnt vmcnt(3)
	v_and_b32_e32 v74, 0xf0f0f0f, v68
	v_lshrrev_b32_e32 v68, 4, v68
	v_dot4c_i32_i8_e32 v66, v74, v6
	v_and_b32_e32 v68, 0xf0f0f0f, v68
	s_waitcnt vmcnt(2)
	v_and_b32_e32 v75, 0xf0f0f0f, v69
	v_lshrrev_b32_e32 v69, 4, v69
	v_cvt_f32_i32_e32 v66, v66
	v_dot4c_i32_i8_e32 v67, v68, v7
	v_dot4c_i32_i8_e32 v72, v75, v8
	v_and_b32_e32 v69, 0xf0f0f0f, v69
	v_dot4c_i32_i8_e32 v73, v69, v9
	v_cvt_f32_i32_e32 v67, v67
	v_cvt_f32_i32_e32 v68, v72
	v_fma_f32 v66, v0, v66, -v1
	v_cvt_f32_i32_e32 v69, v73
	s_waitcnt vmcnt(1)
	v_fma_mix_f32 v66, v66, v70, 0 op_sel_hi:[0,1,0]
	v_fma_f32 v67, v0, v67, -v1
	v_fma_f32 v68, v2, v68, -v3
	v_fma_mix_f32 v66, v67, v70, v66 op_sel_hi:[0,1,0]
	s_waitcnt vmcnt(0)
	v_fma_mix_f32 v66, v68, v71, v66 op_sel_hi:[0,1,0]
	v_fma_f32 v67, v2, v69, -v3
	v_fma_mix_f32 v66, v67, v71, v66 op_sel_hi:[0,1,0]
	ds_bpermute_b32 v67, v52, v66
	s_waitcnt lgkmcnt(0)
	v_add_f32_e32 v66, v66, v67
	ds_bpermute_b32 v67, v53, v66
	s_waitcnt lgkmcnt(0)
	v_add_f32_e32 v66, v66, v67
	s_cbranch_vccnz .LBB0_25
; %bb.24:                               ;   in Loop: Header=BB0_19 Depth=1
	global_load_ushort v67, v[16:17], off offset:-2
	s_waitcnt vmcnt(0)
	v_fma_mix_f32 v66, v49, v67, v66 op_sel_hi:[0,1,0]
.LBB0_25:                               ;   in Loop: Header=BB0_19 Depth=1
	v_lshl_add_u64 v[68:69], v[10:11], 0, s[44:45]
	global_load_dword v67, v[68:69], off offset:2
	global_load_dword v70, v[68:69], off offset:20
	v_lshl_add_u64 v[68:69], v[12:13], 0, s[44:45]
	global_load_ushort v71, v[68:69], off
	global_load_ushort v72, v[68:69], off offset:18
	v_mov_b32_e32 v68, 0
	v_mov_b32_e32 v69, 0
	;; [unrolled: 1-line block ×4, first 2 shown]
	s_and_b64 vcc, exec, s[12:13]
	s_waitcnt vmcnt(3)
	v_and_b32_e32 v75, 0xf0f0f0f, v67
	v_lshrrev_b32_e32 v67, 4, v67
	v_dot4c_i32_i8_e32 v68, v75, v6
	v_and_b32_e32 v67, 0xf0f0f0f, v67
	s_waitcnt vmcnt(2)
	v_and_b32_e32 v76, 0xf0f0f0f, v70
	v_lshrrev_b32_e32 v70, 4, v70
	v_cvt_f32_i32_e32 v68, v68
	v_dot4c_i32_i8_e32 v69, v67, v7
	v_dot4c_i32_i8_e32 v73, v76, v8
	v_and_b32_e32 v70, 0xf0f0f0f, v70
	v_dot4c_i32_i8_e32 v74, v70, v9
	v_cvt_f32_i32_e32 v69, v69
	v_cvt_f32_i32_e32 v67, v73
	v_fma_f32 v68, v0, v68, -v1
	v_cvt_f32_i32_e32 v70, v74
	s_waitcnt vmcnt(1)
	v_fma_mix_f32 v68, v68, v71, 0 op_sel_hi:[0,1,0]
	v_fma_f32 v69, v0, v69, -v1
	v_fma_f32 v67, v2, v67, -v3
	v_fma_mix_f32 v68, v69, v71, v68 op_sel_hi:[0,1,0]
	s_waitcnt vmcnt(0)
	v_fma_mix_f32 v67, v67, v72, v68 op_sel_hi:[0,1,0]
	v_fma_f32 v68, v2, v70, -v3
	v_fma_mix_f32 v67, v68, v72, v67 op_sel_hi:[0,1,0]
	ds_bpermute_b32 v68, v52, v67
	s_waitcnt lgkmcnt(0)
	v_add_f32_e32 v67, v67, v68
	ds_bpermute_b32 v68, v53, v67
	s_waitcnt lgkmcnt(0)
	v_add_f32_e32 v67, v67, v68
	s_cbranch_vccnz .LBB0_27
; %bb.26:                               ;   in Loop: Header=BB0_19 Depth=1
	global_load_ushort v68, v[16:17], off
	s_waitcnt vmcnt(0)
	v_fma_mix_f32 v67, v49, v68, v67 op_sel_hi:[0,1,0]
.LBB0_27:                               ;   in Loop: Header=BB0_19 Depth=1
	v_cndmask_b32_e64 v59, v59, v60, s[6:7]
	v_add_f32_e32 v68, 0x40051340, v60
	v_add_f32_e32 v60, 0x40051340, v62
	v_cndmask_b32_e64 v59, v59, v62, s[8:9]
	v_max3_f32 v60, v61, v68, v60
	v_add_f32_e32 v62, 0x40051340, v66
	v_cndmask_b32_e64 v59, v59, v66, s[10:11]
	v_add_f32_e32 v66, 0x40051340, v67
	v_max3_f32 v60, v60, v62, v66
	ds_bpermute_b32 v62, v54, v60
	v_cndmask_b32_e64 v59, v59, v67, s[4:5]
	s_add_i32 s16, s16, s48
	v_lshl_add_u64 v[10:11], v[10:11], 0, s[50:51]
	v_lshl_add_u64 v[12:13], v[12:13], 0, s[50:51]
	s_waitcnt lgkmcnt(0)
	v_max_f32_e32 v62, v62, v62
	v_max_f32_e32 v60, v60, v62
	ds_bpermute_b32 v62, v55, v60
	v_lshl_add_u64 v[14:15], v[14:15], 0, s[50:51]
	v_lshl_add_u64 v[16:17], v[16:17], 0, s[22:23]
	;; [unrolled: 1-line block ×4, first 2 shown]
	s_waitcnt lgkmcnt(0)
	v_max_f32_e32 v62, v62, v62
	v_max_f32_e32 v60, v60, v62
	ds_bpermute_b32 v62, v56, v60
	v_lshl_add_u64 v[22:23], v[22:23], 0, s[50:51]
	v_lshl_add_u64 v[24:25], v[24:25], 0, s[50:51]
	;; [unrolled: 1-line block ×3, first 2 shown]
	s_cmp_ge_i32 s16, s42
	s_waitcnt lgkmcnt(0)
	v_max_f32_e32 v62, v62, v62
	v_max_f32_e32 v60, v60, v62
	v_sub_f32_e32 v61, v61, v60
	v_mul_f32_e32 v62, 0x3fb8aa3b, v61
	v_fma_f32 v66, v61, s17, -v62
	v_rndne_f32_e32 v67, v62
	v_fmac_f32_e32 v66, 0x32a5705f, v61
	v_sub_f32_e32 v62, v62, v67
	v_add_f32_e32 v62, v62, v66
	v_exp_f32_e32 v62, v62
	v_cvt_i32_f32_e32 v66, v67
	v_cmp_ngt_f32_e32 vcc, s18, v61
	v_sub_f32_e32 v59, v59, v60
	v_ldexp_f32 v62, v62, v66
	v_cndmask_b32_e32 v62, 0, v62, vcc
	v_cmp_nlt_f32_e32 vcc, s19, v61
	s_nop 1
	v_cndmask_b32_e32 v61, v58, v62, vcc
	v_mul_f32_e32 v62, 0x3fb8aa3b, v59
	v_fma_f32 v66, v59, s17, -v62
	v_rndne_f32_e32 v67, v62
	v_fmac_f32_e32 v66, 0x32a5705f, v59
	v_sub_f32_e32 v62, v62, v67
	v_add_f32_e32 v62, v62, v66
	v_exp_f32_e32 v62, v62
	v_cvt_i32_f32_e32 v66, v67
	v_cmp_ngt_f32_e32 vcc, s18, v59
	v_cvt_f16_f32_e32 v70, v61
	v_ldexp_f32 v62, v62, v66
	v_lshl_add_u64 v[66:67], v[28:29], 0, s[26:27]
	global_load_dwordx4 v[66:69], v[66:67], off
	v_cndmask_b32_e32 v62, 0, v62, vcc
	v_cmp_nlt_f32_e32 vcc, s19, v59
	v_lshl_add_u64 v[28:29], v[28:29], 0, s[52:53]
	s_nop 0
	v_cndmask_b32_e32 v59, v58, v62, vcc
	v_cvt_f16_f32_e32 v62, v59
	v_fma_f32 v44, v44, v61, v59
	ds_write_b16 v48, v62
	s_waitcnt vmcnt(0)
	v_lshlrev_b32_e32 v62, 16, v66
	v_and_b32_e32 v66, 0xffff0000, v66
	v_cvt_f16_f32_e32 v66, v66
	v_cvt_f16_f32_e32 v62, v62
	v_pack_b32_f16 v71, v62, v66
	v_lshlrev_b32_e32 v62, 16, v67
	v_and_b32_e32 v66, 0xffff0000, v67
	v_cvt_f16_f32_e32 v66, v66
	v_cvt_f16_f32_e32 v62, v62
	v_pack_b32_f16 v72, v62, v66
	;; [unrolled: 5-line block ×4, first 2 shown]
	ds_read_u16 v74, v57
	ds_read_u16 v75, v57 offset:8
	ds_read_u16 v76, v57 offset:16
	;; [unrolled: 1-line block ×7, first 2 shown]
	s_waitcnt lgkmcnt(7)
	v_pk_mul_f16 v71, v74, v71 op_sel_hi:[0,1]
	v_pk_fma_f16 v45, v70, v45, v71 op_sel_hi:[0,1,1]
	v_pk_mul_f16 v71, v74, v72 op_sel_hi:[0,1]
	v_pk_fma_f16 v78, v70, v65, v71 op_sel_hi:[0,1,1]
	;; [unrolled: 2-line block ×4, first 2 shown]
	v_lshl_add_u64 v[64:65], v[32:33], 0, s[26:27]
	global_load_dwordx4 v[70:73], v[64:65], off
	v_lshl_add_u64 v[32:33], v[32:33], 0, s[52:53]
	s_waitcnt vmcnt(0)
	v_lshlrev_b32_e32 v64, 16, v70
	v_and_b32_e32 v65, 0xffff0000, v70
	v_cvt_f16_f32_e32 v65, v65
	v_cvt_f16_f32_e32 v64, v64
	v_and_b32_e32 v69, 0xffff0000, v71
	v_cvt_f16_f32_e32 v69, v69
	v_and_b32_e32 v70, 0xffff0000, v72
	v_pack_b32_f16 v64, v64, v65
	v_lshlrev_b32_e32 v65, 16, v71
	v_cvt_f16_f32_e32 v65, v65
	v_cvt_f16_f32_e32 v70, v70
	v_and_b32_e32 v71, 0xffff0000, v73
	v_cvt_f16_f32_e32 v71, v71
	v_pack_b32_f16 v65, v65, v69
	v_lshlrev_b32_e32 v69, 16, v72
	v_cvt_f16_f32_e32 v69, v69
	s_waitcnt lgkmcnt(6)
	v_pk_fma_f16 v45, v75, v64, v45 op_sel_hi:[0,1,1]
	v_pk_fma_f16 v74, v75, v65, v78 op_sel_hi:[0,1,1]
	v_lshl_add_u64 v[64:65], v[36:37], 0, s[26:27]
	v_pack_b32_f16 v69, v69, v70
	v_lshlrev_b32_e32 v70, 16, v73
	v_cvt_f16_f32_e32 v70, v70
	v_pk_fma_f16 v69, v75, v69, v79 op_sel_hi:[0,1,1]
	v_lshl_add_u64 v[36:37], v[36:37], 0, s[52:53]
	v_pack_b32_f16 v70, v70, v71
	v_pk_fma_f16 v63, v75, v70, v63 op_sel_hi:[0,1,1]
	global_load_dwordx4 v[70:73], v[64:65], off
	s_waitcnt vmcnt(0)
	v_lshlrev_b32_e32 v64, 16, v70
	v_and_b32_e32 v65, 0xffff0000, v70
	v_cvt_f16_f32_e32 v65, v65
	v_cvt_f16_f32_e32 v64, v64
	v_and_b32_e32 v70, 0xffff0000, v71
	v_cvt_f16_f32_e32 v70, v70
	v_pack_b32_f16 v64, v64, v65
	v_lshlrev_b32_e32 v65, 16, v71
	v_cvt_f16_f32_e32 v65, v65
	v_and_b32_e32 v71, 0xffff0000, v72
	v_cvt_f16_f32_e32 v71, v71
	s_waitcnt lgkmcnt(5)
	v_pk_fma_f16 v45, v76, v64, v45 op_sel_hi:[0,1,1]
	v_pack_b32_f16 v65, v65, v70
	v_lshlrev_b32_e32 v70, 16, v72
	v_cvt_f16_f32_e32 v70, v70
	v_and_b32_e32 v72, 0xffff0000, v73
	v_cvt_f16_f32_e32 v72, v72
	v_pk_fma_f16 v74, v76, v65, v74 op_sel_hi:[0,1,1]
	v_pack_b32_f16 v70, v70, v71
	v_lshlrev_b32_e32 v71, 16, v73
	v_cvt_f16_f32_e32 v71, v71
	v_lshl_add_u64 v[64:65], v[40:41], 0, s[26:27]
	v_pk_fma_f16 v69, v76, v70, v69 op_sel_hi:[0,1,1]
	v_lshl_add_u64 v[40:41], v[40:41], 0, s[52:53]
	v_pack_b32_f16 v71, v71, v72
	v_pk_fma_f16 v63, v76, v71, v63 op_sel_hi:[0,1,1]
	global_load_dwordx4 v[70:73], v[64:65], off
	s_waitcnt vmcnt(0)
	v_lshlrev_b32_e32 v64, 16, v70
	v_and_b32_e32 v65, 0xffff0000, v70
	v_cvt_f16_f32_e32 v65, v65
	v_cvt_f16_f32_e32 v64, v64
	v_and_b32_e32 v70, 0xffff0000, v71
	v_cvt_f16_f32_e32 v70, v70
	v_pack_b32_f16 v64, v64, v65
	v_lshlrev_b32_e32 v65, 16, v71
	v_cvt_f16_f32_e32 v65, v65
	v_and_b32_e32 v71, 0xffff0000, v72
	v_cvt_f16_f32_e32 v71, v71
	s_waitcnt lgkmcnt(4)
	v_pk_fma_f16 v45, v77, v64, v45 op_sel_hi:[0,1,1]
	v_pack_b32_f16 v65, v65, v70
	v_lshlrev_b32_e32 v70, 16, v72
	v_cvt_f16_f32_e32 v70, v70
	v_and_b32_e32 v72, 0xffff0000, v73
	v_cvt_f16_f32_e32 v72, v72
	v_pk_fma_f16 v74, v77, v65, v74 op_sel_hi:[0,1,1]
	v_pack_b32_f16 v70, v70, v71
	v_lshlrev_b32_e32 v71, 16, v73
	v_cvt_f16_f32_e32 v71, v71
	v_lshl_add_u64 v[64:65], v[42:43], 0, s[26:27]
	v_pk_fma_f16 v69, v77, v70, v69 op_sel_hi:[0,1,1]
	v_lshl_add_u64 v[42:43], v[42:43], 0, s[52:53]
	v_pack_b32_f16 v71, v71, v72
	v_pk_fma_f16 v63, v77, v71, v63 op_sel_hi:[0,1,1]
	global_load_dwordx4 v[70:73], v[64:65], off
	s_waitcnt vmcnt(0)
	v_lshlrev_b32_e32 v64, 16, v70
	v_and_b32_e32 v65, 0xffff0000, v70
	v_cvt_f16_f32_e32 v65, v65
	v_cvt_f16_f32_e32 v64, v64
	v_and_b32_e32 v70, 0xffff0000, v71
	v_cvt_f16_f32_e32 v70, v70
	v_pack_b32_f16 v64, v64, v65
	v_lshlrev_b32_e32 v65, 16, v71
	v_cvt_f16_f32_e32 v65, v65
	v_and_b32_e32 v71, 0xffff0000, v72
	v_cvt_f16_f32_e32 v71, v71
	s_waitcnt lgkmcnt(3)
	v_pk_fma_f16 v45, v68, v64, v45 op_sel_hi:[0,1,1]
	v_pack_b32_f16 v65, v65, v70
	v_lshlrev_b32_e32 v70, 16, v72
	v_cvt_f16_f32_e32 v70, v70
	v_and_b32_e32 v72, 0xffff0000, v73
	v_cvt_f16_f32_e32 v72, v72
	v_pack_b32_f16 v70, v70, v71
	v_lshlrev_b32_e32 v71, 16, v73
	v_cvt_f16_f32_e32 v71, v71
	v_pk_fma_f16 v73, v68, v70, v69 op_sel_hi:[0,1,1]
	v_pack_b32_f16 v71, v71, v72
	v_pk_fma_f16 v72, v68, v65, v74 op_sel_hi:[0,1,1]
	v_lshl_add_u64 v[64:65], v[38:39], 0, s[26:27]
	v_pk_fma_f16 v63, v68, v71, v63 op_sel_hi:[0,1,1]
	global_load_dwordx4 v[68:71], v[64:65], off
	v_lshl_add_u64 v[38:39], v[38:39], 0, s[52:53]
	s_waitcnt vmcnt(0)
	v_lshlrev_b32_e32 v64, 16, v68
	v_and_b32_e32 v65, 0xffff0000, v68
	v_cvt_f16_f32_e32 v65, v65
	v_cvt_f16_f32_e32 v64, v64
	v_and_b32_e32 v68, 0xffff0000, v69
	v_cvt_f16_f32_e32 v68, v68
	v_pack_b32_f16 v64, v64, v65
	v_lshlrev_b32_e32 v65, 16, v69
	v_cvt_f16_f32_e32 v65, v65
	v_and_b32_e32 v69, 0xffff0000, v70
	v_cvt_f16_f32_e32 v69, v69
	s_waitcnt lgkmcnt(2)
	v_pk_fma_f16 v45, v67, v64, v45 op_sel_hi:[0,1,1]
	v_pack_b32_f16 v65, v65, v68
	v_lshlrev_b32_e32 v68, 16, v70
	v_cvt_f16_f32_e32 v68, v68
	v_and_b32_e32 v70, 0xffff0000, v71
	v_cvt_f16_f32_e32 v70, v70
	v_pk_fma_f16 v72, v67, v65, v72 op_sel_hi:[0,1,1]
	v_pack_b32_f16 v68, v68, v69
	v_lshlrev_b32_e32 v69, 16, v71
	v_cvt_f16_f32_e32 v69, v69
	v_lshl_add_u64 v[64:65], v[34:35], 0, s[26:27]
	v_pk_fma_f16 v73, v67, v68, v73 op_sel_hi:[0,1,1]
	v_lshl_add_u64 v[34:35], v[34:35], 0, s[52:53]
	v_pack_b32_f16 v69, v69, v70
	v_pk_fma_f16 v63, v67, v69, v63 op_sel_hi:[0,1,1]
	global_load_dwordx4 v[68:71], v[64:65], off
	s_waitcnt vmcnt(0)
	v_lshlrev_b32_e32 v64, 16, v68
	v_and_b32_e32 v65, 0xffff0000, v68
	v_cvt_f16_f32_e32 v65, v65
	v_cvt_f16_f32_e32 v64, v64
	v_and_b32_e32 v67, 0xffff0000, v69
	v_cvt_f16_f32_e32 v67, v67
	v_and_b32_e32 v68, 0xffff0000, v70
	v_pack_b32_f16 v64, v64, v65
	v_lshlrev_b32_e32 v65, 16, v69
	v_cvt_f16_f32_e32 v65, v65
	v_cvt_f16_f32_e32 v68, v68
	v_and_b32_e32 v69, 0xffff0000, v71
	v_cvt_f16_f32_e32 v69, v69
	v_pack_b32_f16 v65, v65, v67
	v_lshlrev_b32_e32 v67, 16, v70
	v_cvt_f16_f32_e32 v67, v67
	s_waitcnt lgkmcnt(1)
	v_pk_fma_f16 v45, v66, v64, v45 op_sel_hi:[0,1,1]
	v_pack_b32_f16 v67, v67, v68
	v_lshlrev_b32_e32 v68, 16, v71
	v_cvt_f16_f32_e32 v68, v68
	v_pk_fma_f16 v70, v66, v67, v73 op_sel_hi:[0,1,1]
	v_pack_b32_f16 v68, v68, v69
	v_pk_fma_f16 v69, v66, v65, v72 op_sel_hi:[0,1,1]
	v_lshl_add_u64 v[64:65], v[30:31], 0, s[26:27]
	v_pk_fma_f16 v63, v66, v68, v63 op_sel_hi:[0,1,1]
	global_load_dwordx4 v[64:67], v[64:65], off
	v_lshl_add_u64 v[30:31], v[30:31], 0, s[52:53]
	s_waitcnt vmcnt(0)
	v_lshlrev_b32_e32 v68, 16, v64
	v_and_b32_e32 v64, 0xffff0000, v64
	v_cvt_f16_f32_e32 v64, v64
	v_cvt_f16_f32_e32 v68, v68
	v_pack_b32_f16 v64, v68, v64
	v_lshlrev_b32_e32 v68, 16, v65
	v_and_b32_e32 v65, 0xffff0000, v65
	v_cvt_f16_f32_e32 v65, v65
	v_cvt_f16_f32_e32 v68, v68
	s_waitcnt lgkmcnt(0)
	v_pk_fma_f16 v45, v62, v64, v45 op_sel_hi:[0,1,1]
	v_pack_b32_f16 v65, v68, v65
	v_lshlrev_b32_e32 v68, 16, v66
	v_and_b32_e32 v66, 0xffff0000, v66
	v_cvt_f16_f32_e32 v66, v66
	v_cvt_f16_f32_e32 v68, v68
	v_pk_fma_f16 v65, v62, v65, v69 op_sel_hi:[0,1,1]
	v_pack_b32_f16 v66, v68, v66
	v_lshlrev_b32_e32 v68, 16, v67
	v_and_b32_e32 v67, 0xffff0000, v67
	v_cvt_f16_f32_e32 v67, v67
	v_cvt_f16_f32_e32 v68, v68
	v_pk_fma_f16 v64, v62, v66, v70 op_sel_hi:[0,1,1]
	v_pack_b32_f16 v67, v68, v67
	v_pk_fma_f16 v63, v62, v67, v63 op_sel_hi:[0,1,1]
	s_cbranch_scc1 .LBB0_29
; %bb.28:                               ;   in Loop: Header=BB0_19 Depth=1
	v_mov_b32_e32 v61, v60
	s_branch .LBB0_19
.LBB0_29:
	s_cmp_lg_u64 s[24:25], 0
	v_or_b32_e32 v0, s3, v46
	s_cselect_b64 s[4:5], -1, 0
	v_cmp_eq_u32_e32 vcc, 0, v0
	s_and_b64 s[6:7], vcc, s[4:5]
	s_and_saveexec_b64 s[4:5], s[6:7]
	s_cbranch_execz .LBB0_31
; %bb.30:
	s_lshl_b64 s[6:7], s[40:41], 2
	s_add_u32 s6, s24, s6
	s_addc_u32 s7, s25, s7
	s_load_dword s6, s[6:7], 0x0
	v_max_f32_e32 v0, v60, v60
	s_mov_b32 s7, 0x3fb8aa3b
	s_mov_b32 s8, 0xc2ce8ed0
	;; [unrolled: 1-line block ×3, first 2 shown]
	s_waitcnt lgkmcnt(0)
	v_max_f32_e64 v1, s6, s6
	v_max_f32_e32 v0, v1, v0
	v_sub_f32_e32 v1, v60, v0
	v_mul_f32_e32 v2, 0x3fb8aa3b, v1
	v_fma_f32 v3, v1, s7, -v2
	v_rndne_f32_e32 v6, v2
	v_fmac_f32_e32 v3, 0x32a5705f, v1
	v_sub_f32_e32 v2, v2, v6
	v_add_f32_e32 v2, v2, v3
	v_cvt_i32_f32_e32 v3, v6
	v_exp_f32_e32 v2, v2
	v_cmp_ngt_f32_e32 vcc, s8, v1
	v_mov_b32_e32 v60, v0
	v_ldexp_f32 v2, v2, v3
	v_sub_f32_e32 v3, s6, v0
	v_mul_f32_e32 v6, 0x3fb8aa3b, v3
	v_fma_f32 v7, v3, s7, -v6
	v_rndne_f32_e32 v8, v6
	v_fmac_f32_e32 v7, 0x32a5705f, v3
	v_sub_f32_e32 v6, v6, v8
	v_add_f32_e32 v6, v6, v7
	v_exp_f32_e32 v6, v6
	v_cvt_i32_f32_e32 v7, v8
	v_cndmask_b32_e32 v2, 0, v2, vcc
	v_mov_b32_e32 v8, 0x7f800000
	v_cmp_nlt_f32_e32 vcc, s9, v1
	s_nop 1
	v_cndmask_b32_e32 v1, v8, v2, vcc
	v_ldexp_f32 v2, v6, v7
	v_cmp_ngt_f32_e32 vcc, s8, v3
	v_cvt_f16_f32_e32 v6, v1
	v_pk_mul_f16 v45, v6, v45 op_sel_hi:[0,1]
	v_cndmask_b32_e32 v2, 0, v2, vcc
	v_cmp_nlt_f32_e32 vcc, s9, v3
	v_pk_mul_f16 v65, v6, v65 op_sel_hi:[0,1]
	v_pk_mul_f16 v64, v6, v64 op_sel_hi:[0,1]
	v_cndmask_b32_e32 v2, v8, v2, vcc
	v_cmp_eq_u32_e32 vcc, 0, v47
	v_pk_mul_f16 v63, v6, v63 op_sel_hi:[0,1]
	s_nop 0
	v_cndmask_b32_e32 v2, 0, v2, vcc
	v_fmac_f32_e32 v2, v44, v1
	v_mov_b32_e32 v44, v2
.LBB0_31:
	s_or_b64 exec, exec, s[4:5]
	s_and_saveexec_b64 s[4:5], s[14:15]
	s_cbranch_execz .LBB0_33
; %bb.32:
	v_mov_b32_e32 v0, 0xfeffffff
	v_mov_b32_e32 v1, 0
	v_add_u32_e32 v2, 0x800, v50
	ds_write2_b32 v2, v0, v1 offset1:32
.LBB0_33:
	s_or_b64 exec, exec, s[4:5]
	v_cmp_eq_u32_e32 vcc, 0, v47
	v_lshlrev_b32_e32 v9, 2, v46
	s_waitcnt lgkmcnt(0)
	s_barrier
	s_and_saveexec_b64 s[4:5], vcc
	s_cbranch_execz .LBB0_35
; %bb.34:
	ds_write_b32 v9, v60 offset:2048
.LBB0_35:
	s_or_b64 exec, exec, s[4:5]
	v_mbcnt_hi_u32_b32 v3, -1, v51
	s_waitcnt lgkmcnt(0)
	s_barrier
	ds_read_b32 v0, v50 offset:2048
	v_and_b32_e32 v1, 0x60, v3
	v_add_u32_e32 v7, 32, v1
	v_xor_b32_e32 v1, 16, v3
	v_cmp_lt_i32_e64 s[4:5], v1, v7
	s_nop 1
	v_cndmask_b32_e64 v1, v3, v1, s[4:5]
	v_lshlrev_b32_e32 v8, 2, v1
	s_waitcnt lgkmcnt(0)
	ds_bpermute_b32 v1, v8, v0
	v_max_f32_e32 v0, v0, v0
	s_waitcnt lgkmcnt(0)
	v_max_f32_e32 v1, v1, v1
	v_max_f32_e32 v0, v0, v1
	v_xor_b32_e32 v1, 8, v3
	v_cmp_lt_i32_e64 s[4:5], v1, v7
	s_nop 1
	v_cndmask_b32_e64 v1, v3, v1, s[4:5]
	v_lshlrev_b32_e32 v1, 2, v1
	ds_bpermute_b32 v2, v1, v0
	s_waitcnt lgkmcnt(0)
	v_max_f32_e32 v2, v2, v2
	v_max_f32_e32 v0, v0, v2
	v_xor_b32_e32 v2, 4, v3
	v_cmp_lt_i32_e64 s[4:5], v2, v7
	s_nop 1
	v_cndmask_b32_e64 v2, v3, v2, s[4:5]
	v_lshlrev_b32_e32 v2, 2, v2
	ds_bpermute_b32 v6, v2, v0
	;; [unrolled: 9-line block ×4, first 2 shown]
	s_mov_b32 s4, 0x3fb8aa3b
	s_waitcnt lgkmcnt(0)
	v_max_f32_e32 v3, v3, v3
	v_max_f32_e32 v0, v0, v3
	v_sub_f32_e32 v3, v60, v0
	v_mul_f32_e32 v10, 0x3fb8aa3b, v3
	v_fma_f32 v11, v3, s4, -v10
	v_rndne_f32_e32 v12, v10
	v_fmamk_f32 v11, v3, 0x32a5705f, v11
	v_sub_f32_e32 v10, v10, v12
	v_add_f32_e32 v10, v10, v11
	v_exp_f32_e32 v10, v10
	v_cvt_i32_f32_e32 v11, v12
	s_mov_b32 s4, 0xc2ce8ed0
	v_cmp_ngt_f32_e64 s[4:5], s4, v3
	v_ldexp_f32 v10, v10, v11
	s_nop 0
	v_cndmask_b32_e64 v10, 0, v10, s[4:5]
	s_mov_b32 s4, 0x42b17218
	v_mov_b32_e32 v11, 0x7f800000
	v_cmp_nlt_f32_e64 s[4:5], s4, v3
	s_nop 1
	v_cndmask_b32_e64 v3, v11, v10, s[4:5]
	v_mul_f32_e32 v10, v44, v3
	ds_bpermute_b32 v10, v8, v10
	s_movk_i32 s4, 0x70
	s_waitcnt lgkmcnt(0)
	v_fmac_f32_e32 v10, v44, v3
	ds_bpermute_b32 v11, v1, v10
	v_cvt_f16_f32_e32 v3, v3
	s_waitcnt lgkmcnt(0)
	v_add_f32_e32 v11, v10, v11
	ds_bpermute_b32 v12, v2, v11
	v_pk_mul_f16 v10, v3, v45 op_sel_hi:[0,1]
	v_pk_mul_f16 v13, v3, v63 op_sel_hi:[0,1]
	s_waitcnt lgkmcnt(0)
	v_add_f32_e32 v14, v11, v12
	ds_bpermute_b32 v15, v6, v14
	v_pk_mul_f16 v11, v3, v65 op_sel_hi:[0,1]
	v_pk_mul_f16 v12, v3, v64 op_sel_hi:[0,1]
	v_and_b32_e32 v3, 0x780, v4
	v_lshl_add_u32 v3, v46, 9, v3
	s_waitcnt lgkmcnt(0)
	v_add_f32_e32 v14, v14, v15
	ds_bpermute_b32 v15, v7, v14
	v_and_or_b32 v3, v4, s4, v3
	ds_write_b128 v3, v[10:13]
	s_waitcnt lgkmcnt(1)
	v_add_f32_e32 v3, v14, v15
	s_and_saveexec_b64 s[4:5], vcc
	s_cbranch_execz .LBB0_37
; %bb.36:
	ds_write_b32 v9, v3 offset:2176
.LBB0_37:
	s_or_b64 exec, exec, s[4:5]
	v_cmp_lt_u32_e32 vcc, 63, v5
	s_waitcnt lgkmcnt(0)
	s_barrier
	s_waitcnt lgkmcnt(0)
                                        ; implicit-def: $sgpr6
	s_and_saveexec_b64 s[4:5], vcc
	s_xor_b64 s[4:5], exec, s[4:5]
	s_cbranch_execz .LBB0_39
; %bb.38:
	s_load_dword s6, s[0:1], 0xd4
                                        ; implicit-def: $vgpr50
                                        ; implicit-def: $vgpr8
                                        ; implicit-def: $vgpr48
                                        ; implicit-def: $vgpr1
                                        ; implicit-def: $vgpr2
                                        ; implicit-def: $vgpr6
                                        ; implicit-def: $vgpr7
.LBB0_39:
	s_or_saveexec_b64 s[4:5], s[4:5]
	s_waitcnt lgkmcnt(0)
	v_mov_b32_e32 v4, s6
	s_mul_i32 s6, s33, s34
	s_xor_b64 exec, exec, s[4:5]
	s_cbranch_execz .LBB0_41
; %bb.40:
	ds_read_b32 v9, v50 offset:2176
	ds_read_u16 v3, v48
	ds_read_u16 v4, v48 offset:128
	ds_read_u16 v10, v48 offset:256
	;; [unrolled: 1-line block ×6, first 2 shown]
	s_waitcnt lgkmcnt(6)
	v_cvt_f32_f16_e32 v3, v3
	s_waitcnt lgkmcnt(5)
	v_cvt_f32_f16_e32 v4, v4
	ds_bpermute_b32 v11, v8, v9
	s_waitcnt lgkmcnt(5)
	v_cvt_f32_f16_e32 v8, v10
	s_waitcnt lgkmcnt(4)
	v_cvt_f32_f16_e32 v10, v12
	v_add_f32_e32 v3, 0, v3
	v_add_f32_e32 v3, v3, v4
	s_waitcnt lgkmcnt(3)
	v_cvt_f32_f16_e32 v4, v13
	v_add_f32_e32 v3, v3, v8
	s_waitcnt lgkmcnt(2)
	v_cvt_f32_f16_e32 v8, v14
	;; [unrolled: 3-line block ×3, first 2 shown]
	ds_read_u16 v12, v48 offset:896
	ds_read_u16 v13, v48 offset:1024
	ds_read_u16 v14, v48 offset:1152
	ds_read_u16 v15, v48 offset:1280
	ds_read_u16 v16, v48 offset:1408
	ds_read_u16 v17, v48 offset:1536
	ds_read_u16 v18, v48 offset:1664
	ds_read_u16 v19, v48 offset:1792
	s_waitcnt lgkmcnt(7)
	v_cvt_f32_f16_e32 v12, v12
	v_add_f32_e32 v3, v3, v4
	v_add_f32_e32 v3, v3, v8
	s_waitcnt lgkmcnt(6)
	v_cvt_f32_f16_e32 v4, v13
	v_add_f32_e32 v3, v3, v10
	s_waitcnt lgkmcnt(5)
	v_cvt_f32_f16_e32 v8, v14
	;; [unrolled: 3-line block ×3, first 2 shown]
	s_waitcnt lgkmcnt(3)
	v_cvt_f32_f16_e32 v10, v16
	v_add_f32_e32 v3, v3, v4
	v_add_f32_e32 v3, v3, v8
	;; [unrolled: 1-line block ×3, first 2 shown]
	v_pk_add_f32 v[8:9], v[8:9], v[10:11]
	ds_bpermute_b32 v11, v1, v9
	s_waitcnt lgkmcnt(3)
	v_cvt_f32_f16_e32 v10, v17
	ds_read_u16 v1, v48 offset:1920
	s_load_dword s7, s[0:1], 0xd4
	s_waitcnt lgkmcnt(0)
	v_pk_add_f32 v[8:9], v[8:9], v[10:11]
	ds_bpermute_b32 v3, v2, v9
	v_cvt_f32_f16_e32 v2, v18
	s_cmp_eq_u32 s7, 1
	s_waitcnt lgkmcnt(0)
	v_pk_add_f32 v[2:3], v[8:9], v[2:3]
	ds_bpermute_b32 v9, v6, v3
	v_cvt_f32_f16_e32 v8, v19
	v_cvt_f32_f16_e32 v6, v1
	s_waitcnt lgkmcnt(0)
	v_pk_add_f32 v[2:3], v[2:3], v[8:9]
	ds_bpermute_b32 v7, v7, v3
	s_waitcnt lgkmcnt(0)
	v_pk_add_f32 v[2:3], v[2:3], v[6:7]
	s_nop 0
	v_div_scale_f32 v1, s[0:1], v3, v3, v2
	v_rcp_f32_e32 v4, v1
	v_mov_b32_e32 v6, s28
	v_mov_b32_e32 v7, s29
	v_fma_f32 v8, -v1, v4, 1.0
	v_fmac_f32_e32 v4, v8, v4
	v_div_scale_f32 v8, vcc, v2, v3, v2
	v_mul_f32_e32 v9, v8, v4
	v_fma_f32 v10, -v1, v9, v8
	v_fmac_f32_e32 v9, v10, v4
	v_fma_f32 v1, -v1, v9, v8
	v_div_fmas_f32 v1, v1, v4, v9
	s_cselect_b64 vcc, -1, 0
	s_add_i32 s0, s6, s2
	s_mul_i32 s0, s0, s35
	s_add_i32 s0, s0, s40
	s_mul_i32 s0, s7, s0
	s_add_i32 s0, s0, s3
	v_div_fixup_f32 v1, v1, v3, v2
	v_lshl_or_b32 v8, s0, 6, v5
	v_mov_b32_e32 v9, 0
	v_cndmask_b32_e32 v1, v2, v1, vcc
	v_lshl_add_u64 v[6:7], v[8:9], 2, v[6:7]
	v_mov_b32_e32 v4, s7
	global_store_dword v[6:7], v1, off
.LBB0_41:
	s_or_b64 exec, exec, s[4:5]
	v_cmp_ne_u32_e32 vcc, 1, v4
	v_cmp_eq_u32_e64 s[0:1], 0, v5
	s_and_b64 s[0:1], s[0:1], vcc
	s_and_saveexec_b64 s[4:5], s[0:1]
	s_cbranch_execz .LBB0_43
; %bb.42:
	s_add_i32 s0, s6, s2
	s_mul_i32 s0, s0, s35
	s_add_i32 s0, s0, s40
	v_mul_lo_u32 v1, v4, s0
	v_mov_b32_e32 v6, s30
	v_mov_b32_e32 v7, s31
	v_add_u32_e32 v4, s3, v1
	v_mov_b32_e32 v5, 0
	v_lshl_add_u64 v[4:5], v[4:5], 3, v[6:7]
	v_mov_b32_e32 v1, v3
	global_store_dwordx2 v[4:5], v[0:1], off
.LBB0_43:
	s_endpgm
	.section	.rodata,"a",@progbits
	.p2align	6, 0x0
	.amdhsa_kernel _ZL18flash_attn_ext_vecILi64ELi1EL9ggml_type2ELS0_30ELb0EEvPKcS2_S2_S2_S2_PKiPfP15HIP_vector_typeIfLj2EEffffjfiS6_IjLj3EEiiiiiiiiiiiliiliiiiil
		.amdhsa_group_segment_fixed_size 2304
		.amdhsa_private_segment_fixed_size 0
		.amdhsa_kernarg_size 464
		.amdhsa_user_sgpr_count 2
		.amdhsa_user_sgpr_dispatch_ptr 0
		.amdhsa_user_sgpr_queue_ptr 0
		.amdhsa_user_sgpr_kernarg_segment_ptr 1
		.amdhsa_user_sgpr_dispatch_id 0
		.amdhsa_user_sgpr_kernarg_preload_length 0
		.amdhsa_user_sgpr_kernarg_preload_offset 0
		.amdhsa_user_sgpr_private_segment_size 0
		.amdhsa_uses_dynamic_stack 0
		.amdhsa_enable_private_segment 0
		.amdhsa_system_sgpr_workgroup_id_x 1
		.amdhsa_system_sgpr_workgroup_id_y 1
		.amdhsa_system_sgpr_workgroup_id_z 1
		.amdhsa_system_sgpr_workgroup_info 0
		.amdhsa_system_vgpr_workitem_id 1
		.amdhsa_next_free_vgpr 80
		.amdhsa_next_free_sgpr 67
		.amdhsa_accum_offset 80
		.amdhsa_reserve_vcc 1
		.amdhsa_float_round_mode_32 0
		.amdhsa_float_round_mode_16_64 0
		.amdhsa_float_denorm_mode_32 3
		.amdhsa_float_denorm_mode_16_64 3
		.amdhsa_dx10_clamp 1
		.amdhsa_ieee_mode 1
		.amdhsa_fp16_overflow 0
		.amdhsa_tg_split 0
		.amdhsa_exception_fp_ieee_invalid_op 0
		.amdhsa_exception_fp_denorm_src 0
		.amdhsa_exception_fp_ieee_div_zero 0
		.amdhsa_exception_fp_ieee_overflow 0
		.amdhsa_exception_fp_ieee_underflow 0
		.amdhsa_exception_fp_ieee_inexact 0
		.amdhsa_exception_int_div_zero 0
	.end_amdhsa_kernel
	.section	.text._ZL18flash_attn_ext_vecILi64ELi1EL9ggml_type2ELS0_30ELb0EEvPKcS2_S2_S2_S2_PKiPfP15HIP_vector_typeIfLj2EEffffjfiS6_IjLj3EEiiiiiiiiiiiliiliiiiil,"axG",@progbits,_ZL18flash_attn_ext_vecILi64ELi1EL9ggml_type2ELS0_30ELb0EEvPKcS2_S2_S2_S2_PKiPfP15HIP_vector_typeIfLj2EEffffjfiS6_IjLj3EEiiiiiiiiiiiliiliiiiil,comdat
.Lfunc_end0:
	.size	_ZL18flash_attn_ext_vecILi64ELi1EL9ggml_type2ELS0_30ELb0EEvPKcS2_S2_S2_S2_PKiPfP15HIP_vector_typeIfLj2EEffffjfiS6_IjLj3EEiiiiiiiiiiiliiliiiiil, .Lfunc_end0-_ZL18flash_attn_ext_vecILi64ELi1EL9ggml_type2ELS0_30ELb0EEvPKcS2_S2_S2_S2_PKiPfP15HIP_vector_typeIfLj2EEffffjfiS6_IjLj3EEiiiiiiiiiiiliiliiiiil
                                        ; -- End function
	.section	.AMDGPU.csdata,"",@progbits
; Kernel info:
; codeLenInByte = 8556
; NumSgprs: 73
; NumVgprs: 80
; NumAgprs: 0
; TotalNumVgprs: 80
; ScratchSize: 0
; MemoryBound: 0
; FloatMode: 240
; IeeeMode: 1
; LDSByteSize: 2304 bytes/workgroup (compile time only)
; SGPRBlocks: 9
; VGPRBlocks: 9
; NumSGPRsForWavesPerEU: 73
; NumVGPRsForWavesPerEU: 80
; AccumOffset: 80
; Occupancy: 6
; WaveLimiterHint : 0
; COMPUTE_PGM_RSRC2:SCRATCH_EN: 0
; COMPUTE_PGM_RSRC2:USER_SGPR: 2
; COMPUTE_PGM_RSRC2:TRAP_HANDLER: 0
; COMPUTE_PGM_RSRC2:TGID_X_EN: 1
; COMPUTE_PGM_RSRC2:TGID_Y_EN: 1
; COMPUTE_PGM_RSRC2:TGID_Z_EN: 1
; COMPUTE_PGM_RSRC2:TIDIG_COMP_CNT: 1
; COMPUTE_PGM_RSRC3_GFX90A:ACCUM_OFFSET: 19
; COMPUTE_PGM_RSRC3_GFX90A:TG_SPLIT: 0
	.section	.text._ZL25flash_attn_mask_to_KV_maxILi1EEvPK7__half2Piiii,"axG",@progbits,_ZL25flash_attn_mask_to_KV_maxILi1EEvPK7__half2Piiii,comdat
	.globl	_ZL25flash_attn_mask_to_KV_maxILi1EEvPK7__half2Piiii ; -- Begin function _ZL25flash_attn_mask_to_KV_maxILi1EEvPK7__half2Piiii
	.p2align	8
	.type	_ZL25flash_attn_mask_to_KV_maxILi1EEvPK7__half2Piiii,@function
_ZL25flash_attn_mask_to_KV_maxILi1EEvPK7__half2Piiii: ; @_ZL25flash_attn_mask_to_KV_maxILi1EEvPK7__half2Piiii
; %bb.0:
	s_load_dwordx4 s[4:7], s[0:1], 0x0
	v_cmp_gt_u32_e32 vcc, 32, v0
	s_and_saveexec_b64 s[8:9], vcc
	s_cbranch_execz .LBB1_2
; %bb.1:
	v_lshlrev_b32_e32 v1, 2, v0
	v_mov_b32_e32 v2, 1
	ds_write_b32 v1, v2
.LBB1_2:
	s_or_b64 exec, exec, s[8:9]
	s_load_dwordx4 s[16:19], s[0:1], 0x10
	s_load_dword s14, s[0:1], 0x20
	v_and_b32_e32 v2, 31, v0
	v_cmp_eq_u32_e32 vcc, 0, v2
	v_lshlrev_b32_e32 v4, 2, v2
	s_waitcnt lgkmcnt(0)
	s_mul_i32 s0, s3, s18
	s_mul_i32 s1, s2, s17
	s_add_i32 s0, s0, s1
	s_ashr_i32 s1, s0, 31
	v_mbcnt_lo_u32_b32 v2, -1, 0
	s_lshl_b64 s[0:1], s[0:1], 2
	v_mbcnt_hi_u32_b32 v5, -1, v2
	s_add_u32 s8, s4, s0
	v_and_b32_e32 v2, 0x60, v5
	s_addc_u32 s9, s5, s1
	s_lshl_b32 s15, s16, 8
	v_lshrrev_b32_e32 v1, 3, v0
	s_mov_b64 s[10:11], 0
	v_mov_b32_e32 v3, 0
	s_movk_i32 s16, 0x204
	s_movk_i32 s17, 0x7fff
	s_movk_i32 s18, 0x7c00
	v_add_u32_e32 v6, 32, v2
	v_xor_b32_e32 v7, 16, v5
	v_xor_b32_e32 v8, 8, v5
	;; [unrolled: 1-line block ×5, first 2 shown]
	s_barrier
	s_waitcnt lgkmcnt(0)
                                        ; implicit-def: $sgpr0_sgpr1
	s_branch .LBB1_5
.LBB1_3:                                ;   in Loop: Header=BB1_5 Depth=1
	s_or_b64 exec, exec, s[4:5]
	s_waitcnt lgkmcnt(0)
	s_barrier
	ds_read_b32 v16, v4
	s_waitcnt lgkmcnt(0)
	s_barrier
	ds_bpermute_b32 v2, v2, v16
	v_cmp_ne_u32_e64 s[0:1], 0, v16
	s_waitcnt lgkmcnt(0)
	v_cmp_ne_u32_e64 s[4:5], 0, v2
	s_and_b64 s[4:5], s[0:1], s[4:5]
	s_nop 0
	v_cndmask_b32_e64 v2, 0, 1, s[4:5]
	ds_bpermute_b32 v2, v12, v2
	s_waitcnt lgkmcnt(0)
	v_cmp_ne_u32_e64 s[0:1], 0, v2
	s_and_b64 s[4:5], s[0:1], s[4:5]
	v_cndmask_b32_e64 v2, 0, 1, s[4:5]
	ds_bpermute_b32 v2, v13, v2
	s_waitcnt lgkmcnt(0)
	v_cmp_ne_u32_e64 s[0:1], 0, v2
	s_and_b64 s[4:5], s[0:1], s[4:5]
	;; [unrolled: 5-line block ×3, first 2 shown]
	s_nop 0
	v_cndmask_b32_e64 v2, 0, 1, s[0:1]
	ds_bpermute_b32 v2, v15, v2
	s_xor_b64 s[4:5], s[0:1], -1
	s_waitcnt lgkmcnt(0)
	v_cmp_eq_u32_e64 s[0:1], 0, v2
	s_or_b64 s[0:1], s[0:1], s[4:5]
.LBB1_4:                                ;   in Loop: Header=BB1_5 Depth=1
	s_and_b64 s[4:5], exec, s[0:1]
	s_or_b64 s[10:11], s[4:5], s[10:11]
	v_mov_b32_e32 v2, s15
	s_mov_b32 s15, s19
	s_andn2_b64 exec, exec, s[10:11]
	s_cbranch_execz .LBB1_8
.LBB1_5:                                ; =>This Inner Loop Header: Depth=1
	s_add_i32 s19, s15, 0xffffff00
	s_or_b64 s[0:1], s[0:1], exec
	s_cmp_lt_i32 s19, 0
	s_cbranch_scc1 .LBB1_4
; %bb.6:                                ;   in Loop: Header=BB1_5 Depth=1
	s_lshr_b32 s0, s19, 1
	v_add_u32_e32 v2, s0, v0
	v_lshl_add_u64 v[12:13], v[2:3], 2, s[8:9]
	global_load_dword v12, v[12:13], off
	v_cmp_lt_i32_e64 s[0:1], v7, v6
	s_waitcnt vmcnt(0)
	v_cmp_class_f16_e64 s[4:5], v12, s16
	v_and_b32_sdwa v12, s17, v12 dst_sel:DWORD dst_unused:UNUSED_PAD src0_sel:DWORD src1_sel:WORD_1
	v_cndmask_b32_e64 v2, v5, v7, s[0:1]
	v_cmp_eq_f16_e64 s[0:1], s18, v12
	s_and_b64 s[4:5], s[4:5], s[0:1]
	v_lshlrev_b32_e32 v2, 2, v2
	v_cndmask_b32_e64 v12, 0, 1, s[4:5]
	ds_bpermute_b32 v13, v2, v12
	v_cmp_lt_i32_e64 s[0:1], v8, v6
	s_nop 1
	v_cndmask_b32_e64 v12, v5, v8, s[0:1]
	s_waitcnt lgkmcnt(0)
	v_cmp_ne_u32_e64 s[0:1], 0, v13
	s_and_b64 s[4:5], s[4:5], s[0:1]
	v_lshlrev_b32_e32 v12, 2, v12
	v_cndmask_b32_e64 v13, 0, 1, s[4:5]
	ds_bpermute_b32 v14, v12, v13
	v_cmp_lt_i32_e64 s[0:1], v9, v6
	s_nop 1
	v_cndmask_b32_e64 v13, v5, v9, s[0:1]
	s_waitcnt lgkmcnt(0)
	v_cmp_ne_u32_e64 s[0:1], 0, v14
	;; [unrolled: 9-line block ×4, first 2 shown]
	s_and_b64 s[12:13], s[0:1], s[4:5]
	v_cndmask_b32_e64 v17, 0, 1, s[12:13]
	v_lshlrev_b32_e32 v15, 2, v16
	ds_bpermute_b32 v16, v15, v17
	s_and_saveexec_b64 s[4:5], vcc
	s_cbranch_execz .LBB1_3
; %bb.7:                                ;   in Loop: Header=BB1_5 Depth=1
	s_waitcnt lgkmcnt(0)
	v_cmp_ne_u32_e64 s[0:1], 0, v16
	s_and_b64 s[0:1], s[0:1], s[12:13]
	s_nop 0
	v_cndmask_b32_e64 v16, 0, 1, s[0:1]
	ds_write_b32 v1, v16
	s_branch .LBB1_3
.LBB1_8:
	s_or_b64 exec, exec, s[10:11]
	v_cmp_eq_u32_e32 vcc, 0, v0
	s_and_saveexec_b64 s[0:1], vcc
	s_cbranch_execz .LBB1_10
; %bb.9:
	s_mul_i32 s0, s14, s3
	s_add_i32 s0, s0, s2
	s_ashr_i32 s1, s0, 31
	s_lshl_b64 s[0:1], s[0:1], 2
	s_add_u32 s0, s6, s0
	s_addc_u32 s1, s7, s1
	v_mov_b32_e32 v0, 0
	global_store_dword v0, v2, s[0:1]
.LBB1_10:
	s_endpgm
	.section	.rodata,"a",@progbits
	.p2align	6, 0x0
	.amdhsa_kernel _ZL25flash_attn_mask_to_KV_maxILi1EEvPK7__half2Piiii
		.amdhsa_group_segment_fixed_size 128
		.amdhsa_private_segment_fixed_size 0
		.amdhsa_kernarg_size 288
		.amdhsa_user_sgpr_count 2
		.amdhsa_user_sgpr_dispatch_ptr 0
		.amdhsa_user_sgpr_queue_ptr 0
		.amdhsa_user_sgpr_kernarg_segment_ptr 1
		.amdhsa_user_sgpr_dispatch_id 0
		.amdhsa_user_sgpr_kernarg_preload_length 0
		.amdhsa_user_sgpr_kernarg_preload_offset 0
		.amdhsa_user_sgpr_private_segment_size 0
		.amdhsa_uses_dynamic_stack 0
		.amdhsa_enable_private_segment 0
		.amdhsa_system_sgpr_workgroup_id_x 1
		.amdhsa_system_sgpr_workgroup_id_y 1
		.amdhsa_system_sgpr_workgroup_id_z 0
		.amdhsa_system_sgpr_workgroup_info 0
		.amdhsa_system_vgpr_workitem_id 0
		.amdhsa_next_free_vgpr 18
		.amdhsa_next_free_sgpr 20
		.amdhsa_accum_offset 20
		.amdhsa_reserve_vcc 1
		.amdhsa_float_round_mode_32 0
		.amdhsa_float_round_mode_16_64 0
		.amdhsa_float_denorm_mode_32 3
		.amdhsa_float_denorm_mode_16_64 3
		.amdhsa_dx10_clamp 1
		.amdhsa_ieee_mode 1
		.amdhsa_fp16_overflow 0
		.amdhsa_tg_split 0
		.amdhsa_exception_fp_ieee_invalid_op 0
		.amdhsa_exception_fp_denorm_src 0
		.amdhsa_exception_fp_ieee_div_zero 0
		.amdhsa_exception_fp_ieee_overflow 0
		.amdhsa_exception_fp_ieee_underflow 0
		.amdhsa_exception_fp_ieee_inexact 0
		.amdhsa_exception_int_div_zero 0
	.end_amdhsa_kernel
	.section	.text._ZL25flash_attn_mask_to_KV_maxILi1EEvPK7__half2Piiii,"axG",@progbits,_ZL25flash_attn_mask_to_KV_maxILi1EEvPK7__half2Piiii,comdat
.Lfunc_end1:
	.size	_ZL25flash_attn_mask_to_KV_maxILi1EEvPK7__half2Piiii, .Lfunc_end1-_ZL25flash_attn_mask_to_KV_maxILi1EEvPK7__half2Piiii
                                        ; -- End function
	.section	.AMDGPU.csdata,"",@progbits
; Kernel info:
; codeLenInByte = 852
; NumSgprs: 26
; NumVgprs: 18
; NumAgprs: 0
; TotalNumVgprs: 18
; ScratchSize: 0
; MemoryBound: 0
; FloatMode: 240
; IeeeMode: 1
; LDSByteSize: 128 bytes/workgroup (compile time only)
; SGPRBlocks: 3
; VGPRBlocks: 2
; NumSGPRsForWavesPerEU: 26
; NumVGPRsForWavesPerEU: 18
; AccumOffset: 20
; Occupancy: 8
; WaveLimiterHint : 0
; COMPUTE_PGM_RSRC2:SCRATCH_EN: 0
; COMPUTE_PGM_RSRC2:USER_SGPR: 2
; COMPUTE_PGM_RSRC2:TRAP_HANDLER: 0
; COMPUTE_PGM_RSRC2:TGID_X_EN: 1
; COMPUTE_PGM_RSRC2:TGID_Y_EN: 1
; COMPUTE_PGM_RSRC2:TGID_Z_EN: 0
; COMPUTE_PGM_RSRC2:TIDIG_COMP_CNT: 0
; COMPUTE_PGM_RSRC3_GFX90A:ACCUM_OFFSET: 4
; COMPUTE_PGM_RSRC3_GFX90A:TG_SPLIT: 0
	.section	.text._ZL33flash_attn_stream_k_fixup_uniformILi64ELi1ELi1EEvPfPK15HIP_vector_typeIfLj2EEiiiiiiS1_IjLj3EES5_S5_,"axG",@progbits,_ZL33flash_attn_stream_k_fixup_uniformILi64ELi1ELi1EEvPfPK15HIP_vector_typeIfLj2EEiiiiiiS1_IjLj3EES5_S5_,comdat
	.globl	_ZL33flash_attn_stream_k_fixup_uniformILi64ELi1ELi1EEvPfPK15HIP_vector_typeIfLj2EEiiiiiiS1_IjLj3EES5_S5_ ; -- Begin function _ZL33flash_attn_stream_k_fixup_uniformILi64ELi1ELi1EEvPfPK15HIP_vector_typeIfLj2EEiiiiiiS1_IjLj3EES5_S5_
	.p2align	8
	.type	_ZL33flash_attn_stream_k_fixup_uniformILi64ELi1ELi1EEvPfPK15HIP_vector_typeIfLj2EEiiiiiiS1_IjLj3EES5_S5_,@function
_ZL33flash_attn_stream_k_fixup_uniformILi64ELi1ELi1EEvPfPK15HIP_vector_typeIfLj2EEiiiiiiS1_IjLj3EES5_S5_: ; @_ZL33flash_attn_stream_k_fixup_uniformILi64ELi1ELi1EEvPfPK15HIP_vector_typeIfLj2EEiiiiiiS1_IjLj3EES5_S5_
; %bb.0:
	s_load_dwordx8 s[8:15], s[0:1], 0x1c
	s_load_dwordx2 s[6:7], s[0:1], 0x10
	s_load_dwordx4 s[16:19], s[0:1], 0x3c
	s_waitcnt lgkmcnt(0)
	s_mul_hi_u32 s5, s11, s2
	s_add_i32 s5, s2, s5
	s_lshr_b32 s5, s5, s12
	s_mul_i32 s11, s5, s13
	s_sub_i32 s12, s2, s11
	s_mul_hi_u32 s11, s12, s14
	s_add_i32 s11, s12, s11
	s_lshr_b32 s11, s11, s15
	s_mul_i32 s13, s11, s16
	s_sub_i32 s12, s12, s13
	;; [unrolled: 5-line block ×3, first 2 shown]
	s_add_i32 s17, s17, s3
	s_cmp_lt_i32 s17, s6
	s_cselect_b64 s[12:13], -1, 0
	s_add_i32 s16, s16, s4
	s_cmp_lt_i32 s16, s9
	s_cselect_b64 s[14:15], -1, 0
	s_and_b64 s[12:13], s[12:13], s[14:15]
	s_andn2_b64 vcc, exec, s[12:13]
	s_cbranch_vccnz .LBB2_6
; %bb.1:
	s_load_dwordx4 s[12:15], s[0:1], 0x0
	s_mul_i32 s5, s5, s6
	s_mul_i32 s11, s11, s9
	s_add_i32 s0, s17, s5
	s_mul_i32 s0, s0, s7
	s_add_i32 s1, s16, s11
	s_add_i32 s1, s1, s0
	v_lshl_or_b32 v4, s1, 6, v0
	s_waitcnt lgkmcnt(0)
	v_mov_b32_e32 v2, s12
	v_mov_b32_e32 v3, s13
	v_ashrrev_i32_e32 v5, 31, v4
	v_lshl_add_u64 v[2:3], v[4:5], 2, v[2:3]
	global_load_dword v7, v[2:3], off
	s_add_i32 s6, s3, s4
	s_mul_i32 s4, s2, s10
	s_add_i32 s5, s4, s10
	s_add_i32 s7, s6, s5
	s_add_i32 s0, s7, -1
	s_ashr_i32 s1, s0, 31
	s_lshl_b64 s[0:1], s[0:1], 3
	s_add_u32 s0, s14, s0
	s_addc_u32 s1, s15, s1
	s_load_dword s9, s[0:1], 0x4
	s_add_i32 s2, s5, -2
	s_cmp_lt_i32 s2, s4
	s_cbranch_scc1 .LBB2_4
; %bb.2:
	s_load_dword s0, s[0:1], 0x0
	s_lshl_b32 s2, s8, 2
	s_ashr_i32 s3, s2, 31
	s_lshl_b64 s[2:3], s[2:3], 2
	s_add_u32 s2, s14, s2
	v_lshl_or_b32 v0, s7, 6, v0
	s_addc_u32 s3, s15, s3
	s_add_i32 s5, s5, -1
	s_add_i32 s6, s6, s8
	v_add_u32_e32 v0, 0xffffff80, v0
	s_waitcnt lgkmcnt(0)
	v_mov_b32_e32 v6, s9
	v_mov_b32_e32 v5, s0
	s_mov_b32 s7, 0x3fb8aa3b
	s_mov_b32 s8, 0xc2ce8ed0
	;; [unrolled: 1-line block ×3, first 2 shown]
	v_mov_b32_e32 v4, 0x7f800000
	s_mov_b32 s10, 0xc1a00000
.LBB2_3:                                ; =>This Inner Loop Header: Depth=1
	v_ashrrev_i32_e32 v1, 31, v0
	v_lshl_add_u64 v[8:9], v[0:1], 2, s[2:3]
	global_load_dword v1, v[8:9], off
	s_add_i32 s5, s5, -1
	s_add_i32 s0, s5, s6
	s_ashr_i32 s1, s0, 31
	s_lshl_b64 s[0:1], s[0:1], 3
	s_add_u32 s0, s14, s0
	s_addc_u32 s1, s15, s1
	s_load_dwordx2 s[12:13], s[0:1], 0x0
	s_waitcnt vmcnt(1)
	v_mov_b32_e32 v8, v7
	v_max_f32_e32 v7, v5, v5
	v_mov_b32_e32 v9, v6
	v_subrev_u32_e32 v0, 64, v0
	s_waitcnt lgkmcnt(0)
	v_max_f32_e64 v6, s12, s12
	v_max_f32_e32 v6, v7, v6
	v_sub_f32_e32 v10, s12, v6
	v_sub_f32_e32 v7, v5, v6
	v_mul_f32_e32 v11, 0x3fb8aa3b, v10
	v_mov_b32_e32 v5, v6
	v_mul_f32_e32 v6, 0x3fb8aa3b, v7
	v_fma_f32 v14, v10, s7, -v11
	v_rndne_f32_e32 v15, v11
	v_fma_f32 v12, v7, s7, -v6
	v_rndne_f32_e32 v13, v6
	v_fmac_f32_e32 v14, 0x32a5705f, v10
	v_sub_f32_e32 v11, v11, v15
	v_fmac_f32_e32 v12, 0x32a5705f, v7
	v_sub_f32_e32 v6, v6, v13
	v_add_f32_e32 v11, v11, v14
	v_cvt_i32_f32_e32 v15, v15
	v_add_f32_e32 v6, v6, v12
	v_exp_f32_e32 v11, v11
	v_cvt_i32_f32_e32 v13, v13
	v_exp_f32_e32 v6, v6
	v_cmp_ngt_f32_e32 vcc, s8, v10
	v_ldexp_f32 v11, v11, v15
	v_cmp_ngt_f32_e64 s[0:1], s8, v7
	v_ldexp_f32 v6, v6, v13
	v_cndmask_b32_e32 v11, 0, v11, vcc
	v_cmp_nlt_f32_e32 vcc, s9, v10
	v_cndmask_b32_e64 v6, 0, v6, s[0:1]
	v_cmp_nlt_f32_e64 s[0:1], s9, v7
	v_cndmask_b32_e32 v11, v4, v11, vcc
	v_cmp_le_f32_e32 vcc, s10, v10
	v_cndmask_b32_e64 v6, v4, v6, s[0:1]
	v_cmp_le_f32_e64 s[0:1], s10, v7
	v_cndmask_b32_e32 v7, 0, v11, vcc
	s_cmp_le_i32 s5, s4
	v_cndmask_b32_e64 v10, 0, v6, s[0:1]
	v_mul_f32_e32 v6, s13, v7
	v_fmac_f32_e32 v6, v9, v10
	s_waitcnt vmcnt(0)
	v_mul_f32_e32 v7, v1, v7
	v_fmac_f32_e32 v7, v8, v10
	s_cbranch_scc0 .LBB2_3
	s_branch .LBB2_5
.LBB2_4:
	s_waitcnt lgkmcnt(0)
	v_mov_b32_e32 v6, s9
.LBB2_5:
	s_waitcnt vmcnt(0)
	v_div_scale_f32 v0, s[0:1], v6, v6, v7
	v_rcp_f32_e32 v1, v0
	v_div_scale_f32 v4, vcc, v7, v6, v7
	v_fma_f32 v5, -v0, v1, 1.0
	v_fmac_f32_e32 v1, v5, v1
	v_mul_f32_e32 v5, v4, v1
	v_fma_f32 v8, -v0, v5, v4
	v_fmac_f32_e32 v5, v8, v1
	v_fma_f32 v0, -v0, v5, v4
	v_div_fmas_f32 v0, v0, v1, v5
	v_div_fixup_f32 v0, v0, v6, v7
	global_store_dword v[2:3], v0, off
.LBB2_6:
	s_endpgm
	.section	.rodata,"a",@progbits
	.p2align	6, 0x0
	.amdhsa_kernel _ZL33flash_attn_stream_k_fixup_uniformILi64ELi1ELi1EEvPfPK15HIP_vector_typeIfLj2EEiiiiiiS1_IjLj3EES5_S5_
		.amdhsa_group_segment_fixed_size 0
		.amdhsa_private_segment_fixed_size 0
		.amdhsa_kernarg_size 76
		.amdhsa_user_sgpr_count 2
		.amdhsa_user_sgpr_dispatch_ptr 0
		.amdhsa_user_sgpr_queue_ptr 0
		.amdhsa_user_sgpr_kernarg_segment_ptr 1
		.amdhsa_user_sgpr_dispatch_id 0
		.amdhsa_user_sgpr_kernarg_preload_length 0
		.amdhsa_user_sgpr_kernarg_preload_offset 0
		.amdhsa_user_sgpr_private_segment_size 0
		.amdhsa_uses_dynamic_stack 0
		.amdhsa_enable_private_segment 0
		.amdhsa_system_sgpr_workgroup_id_x 1
		.amdhsa_system_sgpr_workgroup_id_y 1
		.amdhsa_system_sgpr_workgroup_id_z 1
		.amdhsa_system_sgpr_workgroup_info 0
		.amdhsa_system_vgpr_workitem_id 0
		.amdhsa_next_free_vgpr 16
		.amdhsa_next_free_sgpr 20
		.amdhsa_accum_offset 16
		.amdhsa_reserve_vcc 1
		.amdhsa_float_round_mode_32 0
		.amdhsa_float_round_mode_16_64 0
		.amdhsa_float_denorm_mode_32 3
		.amdhsa_float_denorm_mode_16_64 3
		.amdhsa_dx10_clamp 1
		.amdhsa_ieee_mode 1
		.amdhsa_fp16_overflow 0
		.amdhsa_tg_split 0
		.amdhsa_exception_fp_ieee_invalid_op 0
		.amdhsa_exception_fp_denorm_src 0
		.amdhsa_exception_fp_ieee_div_zero 0
		.amdhsa_exception_fp_ieee_overflow 0
		.amdhsa_exception_fp_ieee_underflow 0
		.amdhsa_exception_fp_ieee_inexact 0
		.amdhsa_exception_int_div_zero 0
	.end_amdhsa_kernel
	.section	.text._ZL33flash_attn_stream_k_fixup_uniformILi64ELi1ELi1EEvPfPK15HIP_vector_typeIfLj2EEiiiiiiS1_IjLj3EES5_S5_,"axG",@progbits,_ZL33flash_attn_stream_k_fixup_uniformILi64ELi1ELi1EEvPfPK15HIP_vector_typeIfLj2EEiiiiiiS1_IjLj3EES5_S5_,comdat
.Lfunc_end2:
	.size	_ZL33flash_attn_stream_k_fixup_uniformILi64ELi1ELi1EEvPfPK15HIP_vector_typeIfLj2EEiiiiiiS1_IjLj3EES5_S5_, .Lfunc_end2-_ZL33flash_attn_stream_k_fixup_uniformILi64ELi1ELi1EEvPfPK15HIP_vector_typeIfLj2EEiiiiiiS1_IjLj3EES5_S5_
                                        ; -- End function
	.section	.AMDGPU.csdata,"",@progbits
; Kernel info:
; codeLenInByte = 760
; NumSgprs: 26
; NumVgprs: 16
; NumAgprs: 0
; TotalNumVgprs: 16
; ScratchSize: 0
; MemoryBound: 0
; FloatMode: 240
; IeeeMode: 1
; LDSByteSize: 0 bytes/workgroup (compile time only)
; SGPRBlocks: 3
; VGPRBlocks: 1
; NumSGPRsForWavesPerEU: 26
; NumVGPRsForWavesPerEU: 16
; AccumOffset: 16
; Occupancy: 8
; WaveLimiterHint : 0
; COMPUTE_PGM_RSRC2:SCRATCH_EN: 0
; COMPUTE_PGM_RSRC2:USER_SGPR: 2
; COMPUTE_PGM_RSRC2:TRAP_HANDLER: 0
; COMPUTE_PGM_RSRC2:TGID_X_EN: 1
; COMPUTE_PGM_RSRC2:TGID_Y_EN: 1
; COMPUTE_PGM_RSRC2:TGID_Z_EN: 1
; COMPUTE_PGM_RSRC2:TIDIG_COMP_CNT: 0
; COMPUTE_PGM_RSRC3_GFX90A:ACCUM_OFFSET: 3
; COMPUTE_PGM_RSRC3_GFX90A:TG_SPLIT: 0
	.section	.text._ZL33flash_attn_stream_k_fixup_generalILi64ELi1ELi1EEvPfPK15HIP_vector_typeIfLj2EEiiiiS1_IjLj3EES5_S5_S5_,"axG",@progbits,_ZL33flash_attn_stream_k_fixup_generalILi64ELi1ELi1EEvPfPK15HIP_vector_typeIfLj2EEiiiiS1_IjLj3EES5_S5_S5_,comdat
	.globl	_ZL33flash_attn_stream_k_fixup_generalILi64ELi1ELi1EEvPfPK15HIP_vector_typeIfLj2EEiiiiS1_IjLj3EES5_S5_S5_ ; -- Begin function _ZL33flash_attn_stream_k_fixup_generalILi64ELi1ELi1EEvPfPK15HIP_vector_typeIfLj2EEiiiiS1_IjLj3EES5_S5_S5_
	.p2align	8
	.type	_ZL33flash_attn_stream_k_fixup_generalILi64ELi1ELi1EEvPfPK15HIP_vector_typeIfLj2EEiiiiS1_IjLj3EES5_S5_S5_,@function
_ZL33flash_attn_stream_k_fixup_generalILi64ELi1ELi1EEvPfPK15HIP_vector_typeIfLj2EEiiiiS1_IjLj3EES5_S5_S5_: ; @_ZL33flash_attn_stream_k_fixup_generalILi64ELi1ELi1EEvPfPK15HIP_vector_typeIfLj2EEiiiiS1_IjLj3EES5_S5_S5_
; %bb.0:
	s_load_dwordx4 s[12:15], s[0:1], 0x10
	s_load_dword s22, s[0:1], 0x50
	s_mov_b32 s8, 0
	s_waitcnt lgkmcnt(0)
	s_mul_hi_i32 s9, s15, s2
	s_cmp_lg_u64 s[8:9], 0
	s_mul_i32 s5, s15, s2
	s_cbranch_scc0 .LBB3_21
; %bb.1:
	v_cvt_f32_u32_e32 v1, s22
	v_cvt_f32_ubyte0_e32 v2, 0
	s_sub_u32 s8, 0, s22
	s_subb_u32 s10, 0, 0
	v_fmamk_f32 v1, v2, 0x4f800000, v1
	v_rcp_f32_e32 v1, v1
	s_nop 0
	v_mul_f32_e32 v1, 0x5f7ffffc, v1
	v_mul_f32_e32 v2, 0x2f800000, v1
	v_trunc_f32_e32 v2, v2
	v_fmamk_f32 v1, v2, 0xcf800000, v1
	v_cvt_u32_f32_e32 v2, v2
	v_cvt_u32_f32_e32 v1, v1
	v_readfirstlane_b32 s11, v2
	v_readfirstlane_b32 s16, v1
	s_mul_i32 s17, s8, s11
	s_mul_hi_u32 s19, s8, s16
	s_mul_i32 s18, s10, s16
	s_add_i32 s17, s19, s17
	s_add_i32 s17, s17, s18
	s_mul_i32 s20, s8, s16
	s_mul_hi_u32 s18, s16, s17
	s_mul_i32 s19, s16, s17
	s_mul_hi_u32 s16, s16, s20
	s_add_u32 s16, s16, s19
	s_addc_u32 s18, 0, s18
	s_mul_hi_u32 s21, s11, s20
	s_mul_i32 s20, s11, s20
	s_add_u32 s16, s16, s20
	s_mul_hi_u32 s19, s11, s17
	s_addc_u32 s16, s18, s21
	s_addc_u32 s18, s19, 0
	s_mul_i32 s17, s11, s17
	s_add_u32 s16, s16, s17
	s_addc_u32 s17, 0, s18
	v_add_co_u32_e32 v1, vcc, s16, v1
	s_cmp_lg_u64 vcc, 0
	s_addc_u32 s11, s11, s17
	v_readfirstlane_b32 s17, v1
	s_mul_i32 s16, s8, s11
	s_mul_hi_u32 s18, s8, s17
	s_add_i32 s16, s18, s16
	s_mul_i32 s10, s10, s17
	s_add_i32 s16, s16, s10
	s_mul_i32 s8, s8, s17
	s_mul_hi_u32 s18, s11, s8
	s_mul_i32 s19, s11, s8
	s_mul_i32 s21, s17, s16
	s_mul_hi_u32 s8, s17, s8
	s_mul_hi_u32 s20, s17, s16
	s_add_u32 s8, s8, s21
	s_addc_u32 s17, 0, s20
	s_add_u32 s8, s8, s19
	s_mul_hi_u32 s10, s11, s16
	s_addc_u32 s8, s17, s18
	s_addc_u32 s10, s10, 0
	s_mul_i32 s16, s11, s16
	s_add_u32 s8, s8, s16
	s_addc_u32 s10, 0, s10
	v_add_co_u32_e32 v1, vcc, s8, v1
	s_cmp_lg_u64 vcc, 0
	s_addc_u32 s16, s11, s10
	s_ashr_i32 s10, s9, 31
	s_add_u32 s8, s5, s10
	s_mov_b32 s11, s10
	s_addc_u32 s9, s9, s10
	s_xor_b64 s[8:9], s[8:9], s[10:11]
	v_readfirstlane_b32 s19, v1
	s_mul_i32 s18, s8, s16
	s_mul_hi_u32 s20, s8, s19
	s_mul_hi_u32 s17, s8, s16
	s_add_u32 s18, s20, s18
	s_addc_u32 s17, 0, s17
	s_mul_hi_u32 s21, s9, s19
	s_mul_i32 s19, s9, s19
	s_add_u32 s18, s18, s19
	s_mul_hi_u32 s20, s9, s16
	s_addc_u32 s17, s17, s21
	s_addc_u32 s18, s20, 0
	s_mul_i32 s16, s9, s16
	s_add_u32 s16, s17, s16
	s_addc_u32 s17, 0, s18
	s_add_u32 s18, s16, 1
	s_addc_u32 s19, s17, 0
	s_add_u32 s20, s16, 2
	s_mul_i32 s23, s22, s17
	s_mul_hi_u32 s24, s22, s16
	s_addc_u32 s21, s17, 0
	s_add_i32 s24, s24, s23
	s_mul_i32 s23, s22, s16
	v_mov_b32_e32 v1, s23
	v_sub_co_u32_e32 v1, vcc, s8, v1
	s_cmp_lg_u64 vcc, 0
	s_subb_u32 s8, s9, s24
	v_subrev_co_u32_e32 v2, vcc, s22, v1
	s_cmp_lg_u64 vcc, 0
	s_subb_u32 s9, s8, 0
	v_readfirstlane_b32 s23, v2
	s_cmp_ge_u32 s23, s22
	s_cselect_b32 s23, -1, 0
	s_cmp_eq_u32 s9, 0
	s_cselect_b32 s9, s23, -1
	s_cmp_lg_u32 s9, 0
	s_cselect_b32 s9, s21, s19
	v_readfirstlane_b32 s19, v1
	s_cselect_b32 s18, s20, s18
	s_cmp_ge_u32 s19, s22
	s_cselect_b32 s19, -1, 0
	s_cmp_eq_u32 s8, 0
	s_cselect_b32 s8, s19, -1
	s_cmp_lg_u32 s8, 0
	s_cselect_b32 s9, s9, s17
	s_cselect_b32 s8, s18, s16
	s_xor_b64 s[8:9], s[8:9], s[10:11]
	s_sub_u32 s20, s8, s10
	s_load_dwordx4 s[16:19], s[0:1], 0x44
	s_cbranch_execnz .LBB3_3
.LBB3_2:
	v_cvt_f32_u32_e32 v1, s22
	s_sub_i32 s6, 0, s22
	v_rcp_iflag_f32_e32 v1, v1
	s_nop 0
	v_mul_f32_e32 v1, 0x4f7ffffe, v1
	v_cvt_u32_f32_e32 v1, v1
	s_nop 0
	v_readfirstlane_b32 s7, v1
	s_mul_i32 s6, s6, s7
	s_mul_hi_u32 s6, s7, s6
	s_add_i32 s7, s7, s6
	s_mul_hi_u32 s6, s5, s7
	s_mul_i32 s8, s6, s22
	s_sub_i32 s5, s5, s8
	s_add_i32 s7, s6, 1
	s_sub_i32 s8, s5, s22
	s_cmp_ge_u32 s5, s22
	s_cselect_b32 s6, s7, s6
	s_cselect_b32 s5, s8, s5
	s_add_i32 s7, s6, 1
	s_cmp_ge_u32 s5, s22
	s_cselect_b32 s20, s7, s6
.LBB3_3:
	s_add_i32 s5, s2, 1
	s_mul_hi_i32 s9, s15, s5
	s_mov_b32 s8, 0
	s_cmp_lg_u64 s[8:9], 0
	s_mul_i32 s5, s15, s5
	s_cbranch_scc0 .LBB3_22
; %bb.4:
	v_cvt_f32_u32_e32 v1, s22
	v_cvt_f32_ubyte0_e32 v2, 0
	s_sub_u32 s8, 0, s22
	s_subb_u32 s10, 0, 0
	v_fmamk_f32 v1, v2, 0x4f800000, v1
	v_rcp_f32_e32 v1, v1
	s_nop 0
	v_mul_f32_e32 v1, 0x5f7ffffc, v1
	v_mul_f32_e32 v2, 0x2f800000, v1
	v_trunc_f32_e32 v2, v2
	v_fmamk_f32 v1, v2, 0xcf800000, v1
	v_cvt_u32_f32_e32 v2, v2
	v_cvt_u32_f32_e32 v1, v1
	v_readfirstlane_b32 s11, v2
	s_waitcnt lgkmcnt(0)
	v_readfirstlane_b32 s19, v1
	s_mul_i32 s21, s8, s11
	s_mul_hi_u32 s24, s8, s19
	s_mul_i32 s23, s10, s19
	s_add_i32 s21, s24, s21
	s_add_i32 s21, s21, s23
	s_mul_i32 s25, s8, s19
	s_mul_hi_u32 s23, s19, s21
	s_mul_i32 s24, s19, s21
	s_mul_hi_u32 s19, s19, s25
	s_add_u32 s19, s19, s24
	s_addc_u32 s23, 0, s23
	s_mul_hi_u32 s26, s11, s25
	s_mul_i32 s25, s11, s25
	s_add_u32 s19, s19, s25
	s_mul_hi_u32 s24, s11, s21
	s_addc_u32 s19, s23, s26
	s_addc_u32 s23, s24, 0
	s_mul_i32 s21, s11, s21
	s_add_u32 s19, s19, s21
	s_addc_u32 s21, 0, s23
	v_add_co_u32_e32 v1, vcc, s19, v1
	s_cmp_lg_u64 vcc, 0
	s_addc_u32 s11, s11, s21
	v_readfirstlane_b32 s21, v1
	s_mul_i32 s19, s8, s11
	s_mul_hi_u32 s23, s8, s21
	s_add_i32 s19, s23, s19
	s_mul_i32 s10, s10, s21
	s_add_i32 s19, s19, s10
	s_mul_i32 s8, s8, s21
	s_mul_hi_u32 s23, s11, s8
	s_mul_i32 s24, s11, s8
	s_mul_i32 s26, s21, s19
	s_mul_hi_u32 s8, s21, s8
	s_mul_hi_u32 s25, s21, s19
	s_add_u32 s8, s8, s26
	s_addc_u32 s21, 0, s25
	s_add_u32 s8, s8, s24
	s_mul_hi_u32 s10, s11, s19
	s_addc_u32 s8, s21, s23
	s_addc_u32 s10, s10, 0
	s_mul_i32 s19, s11, s19
	s_add_u32 s8, s8, s19
	s_addc_u32 s10, 0, s10
	v_add_co_u32_e32 v1, vcc, s8, v1
	s_cmp_lg_u64 vcc, 0
	s_addc_u32 s19, s11, s10
	s_ashr_i32 s10, s9, 31
	s_add_u32 s8, s5, s10
	s_mov_b32 s11, s10
	s_addc_u32 s9, s9, s10
	s_xor_b64 s[8:9], s[8:9], s[10:11]
	v_readfirstlane_b32 s23, v1
	s_mul_i32 s21, s8, s19
	s_mul_hi_u32 s24, s8, s23
	s_mul_hi_u32 s11, s8, s19
	s_add_u32 s21, s24, s21
	s_addc_u32 s11, 0, s11
	s_mul_hi_u32 s25, s9, s23
	s_mul_i32 s23, s9, s23
	s_add_u32 s21, s21, s23
	s_mul_hi_u32 s24, s9, s19
	s_addc_u32 s11, s11, s25
	s_addc_u32 s21, s24, 0
	s_mul_i32 s19, s9, s19
	s_add_u32 s11, s11, s19
	s_addc_u32 s19, 0, s21
	s_mul_i32 s19, s22, s19
	s_mul_hi_u32 s24, s22, s11
	s_add_i32 s24, s24, s19
	s_mul_i32 s19, s22, s11
	v_mov_b32_e32 v1, s19
	s_add_u32 s21, s11, 1
	s_add_u32 s23, s11, 2
	v_sub_co_u32_e32 v1, vcc, s8, v1
	s_cmp_lg_u64 vcc, 0
	s_subb_u32 s8, s9, s24
	v_subrev_co_u32_e32 v2, vcc, s22, v1
	s_cmp_lg_u64 vcc, 0
	s_subb_u32 s9, s8, 0
	v_cmp_le_u32_e32 vcc, s22, v2
	s_cmp_eq_u32 s9, 0
	v_mov_b32_e32 v3, s21
	v_cndmask_b32_e64 v2, 0, -1, vcc
	s_cselect_b64 vcc, -1, 0
	v_cndmask_b32_e32 v2, -1, v2, vcc
	v_mov_b32_e32 v4, s23
	v_cmp_ne_u32_e32 vcc, 0, v2
	s_cmp_eq_u32 s8, 0
	s_nop 0
	v_cndmask_b32_e32 v2, v3, v4, vcc
	v_cmp_le_u32_e32 vcc, s22, v1
	v_mov_b32_e32 v3, s11
	s_nop 0
	v_cndmask_b32_e64 v1, 0, -1, vcc
	s_cselect_b64 vcc, -1, 0
	v_cndmask_b32_e32 v1, -1, v1, vcc
	v_cmp_ne_u32_e32 vcc, 0, v1
	s_nop 1
	v_cndmask_b32_e32 v1, v3, v2, vcc
	v_xor_b32_e32 v1, s10, v1
	v_subrev_co_u32_e32 v2, vcc, s10, v1
	s_cbranch_execnz .LBB3_6
.LBB3_5:
	v_cvt_f32_u32_e32 v1, s22
	s_sub_i32 s6, 0, s22
	s_mov_b32 s7, 0
	v_rcp_iflag_f32_e32 v1, v1
	s_nop 0
	v_mul_f32_e32 v1, 0x4f7ffffe, v1
	v_cvt_u32_f32_e32 v1, v1
	s_nop 0
	v_readfirstlane_b32 s8, v1
	s_mul_i32 s6, s6, s8
	s_mul_hi_u32 s6, s8, s6
	s_add_i32 s8, s8, s6
	s_mul_hi_u32 s6, s5, s8
	s_mul_i32 s9, s6, s22
	s_sub_i32 s5, s5, s9
	s_add_i32 s8, s6, 1
	s_sub_i32 s9, s5, s22
	s_cmp_ge_u32 s5, s22
	s_cselect_b32 s6, s8, s6
	s_cselect_b32 s5, s9, s5
	s_add_i32 s8, s6, 1
	s_cmp_ge_u32 s5, s22
	s_cselect_b32 s6, s8, s6
	v_mov_b64_e32 v[2:3], s[6:7]
.LBB3_6:
	s_waitcnt lgkmcnt(0)
	s_mul_hi_u32 s5, s20, s16
	s_add_i32 s5, s5, s20
	v_mul_hi_u32 v1, v2, s16
	s_lshr_b32 s19, s5, s17
	v_add_u32_e32 v1, v1, v2
	s_mul_i32 s5, s19, s18
	v_lshrrev_b32_e32 v1, s17, v1
	s_cmp_eq_u32 s5, s20
	v_cmp_eq_u32_e64 s[6:7], s19, v1
	v_mul_lo_u32 v1, v1, s18
	v_cmp_eq_u32_e32 vcc, s20, v2
	s_cselect_b64 s[10:11], -1, 0
	v_cmp_ne_u32_e64 s[8:9], v1, v2
	s_and_b64 s[6:7], s[6:7], s[8:9]
	s_or_b64 s[8:9], vcc, s[10:11]
	s_or_b64 s[6:7], s[8:9], s[6:7]
	s_and_b64 vcc, exec, s[6:7]
	s_cbranch_vccnz .LBB3_24
; %bb.7:
	s_load_dwordx8 s[24:31], s[0:1], 0x20
	s_load_dword s5, s[0:1], 0x40
	s_waitcnt lgkmcnt(0)
	s_mul_hi_u32 s6, s20, s24
	s_add_i32 s6, s6, s20
	s_lshr_b32 s7, s6, s25
	s_mul_i32 s6, s7, s26
	s_sub_i32 s6, s20, s6
	s_mul_hi_u32 s8, s6, s27
	s_add_i32 s8, s6, s8
	s_lshr_b32 s23, s8, s28
	s_mul_i32 s8, s23, s29
	s_sub_i32 s6, s6, s8
	;; [unrolled: 5-line block ×3, first 2 shown]
	s_mul_hi_u32 s6, s5, s16
	s_add_i32 s5, s5, s6
	s_lshr_b32 s24, s5, s17
	s_add_i32 s24, s24, s3
	s_cmp_lt_i32 s24, s12
	s_cselect_b64 s[8:9], -1, 0
	s_add_i32 s25, s25, s4
	s_cmp_lt_i32 s25, s14
	s_cselect_b64 s[10:11], -1, 0
	s_and_b64 s[8:9], s[8:9], s[10:11]
	s_andn2_b64 vcc, exec, s[8:9]
	s_mov_b32 s6, 0
	s_cbranch_vccnz .LBB3_24
; %bb.8:
	s_load_dwordx4 s[8:11], s[0:1], 0x0
	s_lshl_b32 s0, s22, 2
	s_mov_b32 s1, s6
	s_add_i32 s21, s3, s4
	s_lshl_b64 s[0:1], s[0:1], 2
	s_waitcnt lgkmcnt(0)
	s_add_u32 s4, s10, s0
	s_mul_i32 s7, s7, s12
	s_addc_u32 s5, s11, s1
	s_mul_i32 s23, s23, s14
	s_add_i32 s0, s24, s7
	s_mul_i32 s0, s0, s13
	s_add_i32 s1, s25, s23
	s_add_i32 s1, s1, s0
	v_lshl_or_b32 v4, s1, 6, v0
	v_mov_b32_e32 v2, s8
	v_mov_b32_e32 v3, s9
	v_ashrrev_i32_e32 v5, 31, v4
	v_lshl_add_u64 v[2:3], v[4:5], 2, v[2:3]
	global_load_dword v1, v[2:3], off
	v_cvt_f32_u32_e32 v4, s22
	v_cvt_f32_ubyte0_e32 v5, 0
	s_add_i32 s0, s21, s2
	s_ashr_i32 s1, s0, 31
	v_fmac_f32_e32 v4, 0x4f800000, v5
	v_rcp_f32_e32 v4, v4
	v_cvt_f32_u32_e32 v5, s22
	s_lshl_b64 s[0:1], s[0:1], 3
	s_add_u32 s0, s10, s0
	v_mul_f32_e32 v4, 0x5f7ffffc, v4
	v_rcp_iflag_f32_e32 v5, v5
	v_mul_f32_e32 v9, 0x2f800000, v4
	s_addc_u32 s1, s11, s1
	v_trunc_f32_e32 v10, v9
	s_load_dwordx2 s[0:1], s[0:1], 0x0
	v_fmac_f32_e32 v4, 0xcf800000, v10
	v_cvt_u32_f32_e32 v9, v4
	v_mul_f32_e32 v4, 0x4f7ffffe, v5
	v_cvt_u32_f32_e32 v10, v10
	v_cvt_u32_f32_e32 v11, v4
	s_add_i32 s12, s2, -1
	s_waitcnt lgkmcnt(0)
	v_mov_b32_e32 v6, s1
	v_mov_b32_e32 v7, s0
	v_mov_b32_e32 v8, s20
	s_mov_b32 s8, 0x3fb8aa3b
	s_mov_b32 s9, 0xc2ce8ed0
	;; [unrolled: 1-line block ×4, first 2 shown]
	v_mov_b32_e32 v12, 0x7f800000
	s_mul_hi_i32 s7, s12, s15
	s_cmp_lg_u64 s[6:7], 0
	s_mul_i32 s2, s12, s15
	s_cbranch_scc0 .LBB3_15
.LBB3_9:
	s_sub_u32 s0, 0, s22
	v_readfirstlane_b32 s3, v9
	v_readfirstlane_b32 s24, v10
	s_subb_u32 s1, 0, 0
	s_mul_hi_u32 s23, s0, s3
	s_mul_i32 s25, s0, s24
	s_mul_i32 s20, s1, s3
	s_add_i32 s23, s23, s25
	s_add_i32 s23, s23, s20
	s_mul_i32 s26, s0, s3
	s_mul_hi_u32 s20, s3, s23
	s_mul_i32 s25, s3, s23
	s_mul_hi_u32 s3, s3, s26
	s_add_u32 s3, s3, s25
	s_addc_u32 s20, 0, s20
	s_mul_hi_u32 s27, s24, s26
	s_mul_i32 s26, s24, s26
	s_add_u32 s3, s3, s26
	s_mul_hi_u32 s25, s24, s23
	s_addc_u32 s3, s20, s27
	s_addc_u32 s20, s25, 0
	s_mul_i32 s23, s24, s23
	s_add_u32 s3, s3, s23
	s_addc_u32 s20, 0, s20
	v_add_co_u32_e32 v4, vcc, s3, v9
	s_cmp_lg_u64 vcc, 0
	s_addc_u32 s3, s24, s20
	v_readfirstlane_b32 s23, v4
	s_mul_i32 s20, s0, s3
	s_mul_hi_u32 s24, s0, s23
	s_add_i32 s20, s24, s20
	s_mul_i32 s1, s1, s23
	s_add_i32 s20, s20, s1
	s_mul_i32 s0, s0, s23
	s_mul_hi_u32 s24, s3, s0
	s_mul_i32 s25, s3, s0
	s_mul_i32 s27, s23, s20
	s_mul_hi_u32 s0, s23, s0
	s_mul_hi_u32 s26, s23, s20
	s_add_u32 s0, s0, s27
	s_addc_u32 s23, 0, s26
	s_add_u32 s0, s0, s25
	s_mul_hi_u32 s1, s3, s20
	s_addc_u32 s0, s23, s24
	s_addc_u32 s1, s1, 0
	s_mul_i32 s20, s3, s20
	s_add_u32 s0, s0, s20
	s_addc_u32 s1, 0, s1
	v_add_co_u32_e32 v4, vcc, s0, v4
	s_cmp_lg_u64 vcc, 0
	s_addc_u32 s3, s3, s1
	s_ashr_i32 s0, s7, 31
	s_add_u32 s24, s2, s0
	s_mov_b32 s1, s0
	s_addc_u32 s25, s7, s0
	s_xor_b64 s[24:25], s[24:25], s[0:1]
	v_readfirstlane_b32 s20, v4
	s_mul_i32 s7, s24, s3
	s_mul_hi_u32 s23, s24, s20
	s_mul_hi_u32 s1, s24, s3
	s_add_u32 s7, s23, s7
	s_addc_u32 s1, 0, s1
	s_mul_hi_u32 s26, s25, s20
	s_mul_i32 s20, s25, s20
	s_add_u32 s7, s7, s20
	s_mul_hi_u32 s23, s25, s3
	s_addc_u32 s1, s1, s26
	s_addc_u32 s7, s23, 0
	s_mul_i32 s3, s25, s3
	s_add_u32 s1, s1, s3
	s_addc_u32 s3, 0, s7
	s_mul_i32 s3, s22, s3
	s_mul_hi_u32 s23, s22, s1
	s_add_i32 s23, s23, s3
	s_mul_i32 s3, s22, s1
	v_mov_b32_e32 v4, s3
	s_add_u32 s7, s1, 1
	s_add_u32 s20, s1, 2
	v_sub_co_u32_e32 v4, vcc, s24, v4
	s_cmp_lg_u64 vcc, 0
	s_subb_u32 s3, s25, s23
	v_subrev_co_u32_e32 v5, vcc, s22, v4
	s_cmp_lg_u64 vcc, 0
	s_subb_u32 s23, s3, 0
	v_cmp_le_u32_e32 vcc, s22, v5
	s_cmp_eq_u32 s23, 0
	v_mov_b32_e32 v13, s7
	v_cndmask_b32_e64 v5, 0, -1, vcc
	s_cselect_b64 vcc, -1, 0
	v_cndmask_b32_e32 v5, -1, v5, vcc
	v_mov_b32_e32 v14, s20
	v_cmp_ne_u32_e32 vcc, 0, v5
	s_cmp_eq_u32 s3, 0
	s_nop 0
	v_cndmask_b32_e32 v5, v13, v14, vcc
	v_cmp_le_u32_e32 vcc, s22, v4
	v_mov_b32_e32 v13, s1
	s_nop 0
	v_cndmask_b32_e64 v4, 0, -1, vcc
	s_cselect_b64 vcc, -1, 0
	v_cndmask_b32_e32 v4, -1, v4, vcc
	v_cmp_ne_u32_e32 vcc, 0, v4
	s_nop 1
	v_cndmask_b32_e32 v4, v13, v5, vcc
	v_xor_b32_e32 v4, s0, v4
	v_subrev_co_u32_e32 v4, vcc, s0, v4
	s_cbranch_execnz .LBB3_11
.LBB3_10:
	s_sub_i32 s0, 0, s22
	v_mul_lo_u32 v4, s0, v11
	v_mul_hi_u32 v4, v11, v4
	v_add_u32_e32 v4, v11, v4
	v_mul_hi_u32 v4, s2, v4
	v_mul_lo_u32 v13, v4, s22
	v_sub_u32_e32 v13, s2, v13
	v_add_u32_e32 v5, 1, v4
	v_subrev_u32_e32 v14, s22, v13
	v_cmp_le_u32_e32 vcc, s22, v13
	s_nop 1
	v_cndmask_b32_e32 v13, v13, v14, vcc
	v_cndmask_b32_e32 v4, v4, v5, vcc
	v_add_u32_e32 v5, 1, v4
	v_cmp_le_u32_e32 vcc, s22, v13
	s_nop 1
	v_cndmask_b32_e32 v4, v4, v5, vcc
.LBB3_11:
	v_cmp_ne_u32_e32 vcc, v8, v4
	s_cbranch_vccz .LBB3_14
; %bb.12:
	s_add_i32 s20, s12, s21
	v_mul_hi_u32 v5, v4, s16
	s_add_i32 s0, s20, s22
	s_mov_b32 s1, s6
	v_add_u32_e32 v5, v5, v4
	s_lshl_b64 s[0:1], s[0:1], 3
	v_lshrrev_b32_e32 v5, s17, v5
	s_add_u32 s2, s10, s0
	v_mul_lo_u32 v13, v5, s18
	s_addc_u32 s3, s11, s1
	v_cmp_eq_u32_e32 vcc, v13, v4
	v_cmp_gt_u32_e64 s[0:1], s19, v5
	s_or_b64 s[0:1], s[0:1], vcc
	s_and_b64 vcc, exec, s[0:1]
	s_cbranch_vccnz .LBB3_16
; %bb.13:
	s_add_i32 s7, s12, -1
	s_mov_b64 s[0:1], 0
	s_branch .LBB3_17
.LBB3_14:
                                        ; implicit-def: $sgpr0_sgpr1
                                        ; implicit-def: $vgpr14
                                        ; implicit-def: $vgpr5
                                        ; implicit-def: $vgpr13
                                        ; implicit-def: $sgpr7
                                        ; implicit-def: $vgpr4
	s_branch .LBB3_18
.LBB3_15:
                                        ; implicit-def: $vgpr4_vgpr5
	s_branch .LBB3_10
.LBB3_16:
	s_mov_b64 s[0:1], -1
	s_mov_b32 s7, s12
	v_mov_b32_e32 v4, v8
.LBB3_17:
	v_lshl_or_b32 v14, s20, 6, v0
	v_ashrrev_i32_e32 v15, 31, v14
	v_lshl_add_u64 v[14:15], v[14:15], 2, s[4:5]
	global_load_dword v14, v[14:15], off
	s_load_dwordx2 s[2:3], s[2:3], 0x0
	v_max_f32_e32 v5, v7, v7
	s_waitcnt lgkmcnt(0)
	v_max_f32_e64 v13, s2, s2
	v_max_f32_e32 v5, v5, v13
	v_sub_f32_e32 v13, v7, v5
	v_sub_f32_e32 v15, s2, v5
	v_mul_f32_e32 v16, 0x3fb8aa3b, v13
	v_mul_f32_e32 v17, 0x3fb8aa3b, v15
	v_fma_f32 v18, v13, s8, -v16
	v_rndne_f32_e32 v19, v16
	v_fma_f32 v20, v15, s8, -v17
	v_rndne_f32_e32 v21, v17
	v_fmac_f32_e32 v18, 0x32a5705f, v13
	v_sub_f32_e32 v16, v16, v19
	v_fmac_f32_e32 v20, 0x32a5705f, v15
	v_sub_f32_e32 v17, v17, v21
	v_add_f32_e32 v16, v16, v18
	v_cvt_i32_f32_e32 v19, v19
	v_add_f32_e32 v17, v17, v20
	v_exp_f32_e32 v16, v16
	v_cvt_i32_f32_e32 v21, v21
	v_exp_f32_e32 v17, v17
	v_cmp_ngt_f32_e32 vcc, s9, v13
	v_ldexp_f32 v16, v16, v19
	v_ldexp_f32 v17, v17, v21
	v_cndmask_b32_e32 v16, 0, v16, vcc
	v_cmp_ngt_f32_e32 vcc, s9, v15
	s_nop 1
	v_cndmask_b32_e32 v17, 0, v17, vcc
	v_cmp_nlt_f32_e32 vcc, s13, v13
	s_nop 1
	v_cndmask_b32_e32 v16, v12, v16, vcc
	v_cmp_nlt_f32_e32 vcc, s13, v15
	s_nop 1
	v_cndmask_b32_e32 v17, v12, v17, vcc
	v_cmp_le_f32_e32 vcc, s14, v13
	s_nop 1
	v_cndmask_b32_e32 v16, 0, v16, vcc
	v_cmp_le_f32_e32 vcc, s14, v15
	s_nop 1
	v_cndmask_b32_e32 v15, 0, v17, vcc
	v_mul_f32_e32 v13, s3, v15
	v_fmac_f32_e32 v13, v6, v16
	s_waitcnt vmcnt(0)
	v_mul_f32_e32 v14, v14, v15
	v_fmac_f32_e32 v14, v1, v16
	s_cbranch_execnz .LBB3_19
.LBB3_18:
	s_add_i32 s7, s12, -1
	s_mov_b64 s[0:1], 0
	v_mov_b32_e32 v4, v8
	v_mov_b32_e32 v13, v6
	;; [unrolled: 1-line block ×3, first 2 shown]
	s_waitcnt vmcnt(0)
	v_mov_b32_e32 v14, v1
.LBB3_19:
	s_andn2_b64 vcc, exec, s[0:1]
	s_cbranch_vccz .LBB3_23
; %bb.20:
	v_mov_b32_e32 v8, v4
	s_mov_b32 s12, s7
	v_mov_b32_e32 v6, v13
	v_mov_b32_e32 v7, v5
	s_waitcnt vmcnt(0)
	v_mov_b32_e32 v1, v14
	s_mul_hi_i32 s7, s12, s15
	s_cmp_lg_u64 s[6:7], 0
	s_mul_i32 s2, s12, s15
	s_cbranch_scc1 .LBB3_9
	s_branch .LBB3_15
.LBB3_21:
                                        ; implicit-def: $sgpr20_sgpr21
	s_load_dwordx4 s[16:19], s[0:1], 0x44
	s_branch .LBB3_2
.LBB3_22:
                                        ; implicit-def: $vgpr2_vgpr3
	s_branch .LBB3_5
.LBB3_23:
	v_div_scale_f32 v0, s[0:1], v13, v13, v14
	s_waitcnt vmcnt(0)
	v_rcp_f32_e32 v1, v0
	v_div_scale_f32 v4, vcc, v14, v13, v14
	v_fma_f32 v5, -v0, v1, 1.0
	v_fmac_f32_e32 v1, v5, v1
	v_mul_f32_e32 v5, v4, v1
	v_fma_f32 v6, -v0, v5, v4
	v_fmac_f32_e32 v5, v6, v1
	v_fma_f32 v0, -v0, v5, v4
	v_div_fmas_f32 v0, v0, v1, v5
	v_div_fixup_f32 v0, v0, v13, v14
	global_store_dword v[2:3], v0, off
.LBB3_24:
	s_endpgm
	.section	.rodata,"a",@progbits
	.p2align	6, 0x0
	.amdhsa_kernel _ZL33flash_attn_stream_k_fixup_generalILi64ELi1ELi1EEvPfPK15HIP_vector_typeIfLj2EEiiiiS1_IjLj3EES5_S5_S5_
		.amdhsa_group_segment_fixed_size 0
		.amdhsa_private_segment_fixed_size 0
		.amdhsa_kernarg_size 336
		.amdhsa_user_sgpr_count 2
		.amdhsa_user_sgpr_dispatch_ptr 0
		.amdhsa_user_sgpr_queue_ptr 0
		.amdhsa_user_sgpr_kernarg_segment_ptr 1
		.amdhsa_user_sgpr_dispatch_id 0
		.amdhsa_user_sgpr_kernarg_preload_length 0
		.amdhsa_user_sgpr_kernarg_preload_offset 0
		.amdhsa_user_sgpr_private_segment_size 0
		.amdhsa_uses_dynamic_stack 0
		.amdhsa_enable_private_segment 0
		.amdhsa_system_sgpr_workgroup_id_x 1
		.amdhsa_system_sgpr_workgroup_id_y 1
		.amdhsa_system_sgpr_workgroup_id_z 1
		.amdhsa_system_sgpr_workgroup_info 0
		.amdhsa_system_vgpr_workitem_id 0
		.amdhsa_next_free_vgpr 22
		.amdhsa_next_free_sgpr 32
		.amdhsa_accum_offset 24
		.amdhsa_reserve_vcc 1
		.amdhsa_float_round_mode_32 0
		.amdhsa_float_round_mode_16_64 0
		.amdhsa_float_denorm_mode_32 3
		.amdhsa_float_denorm_mode_16_64 3
		.amdhsa_dx10_clamp 1
		.amdhsa_ieee_mode 1
		.amdhsa_fp16_overflow 0
		.amdhsa_tg_split 0
		.amdhsa_exception_fp_ieee_invalid_op 0
		.amdhsa_exception_fp_denorm_src 0
		.amdhsa_exception_fp_ieee_div_zero 0
		.amdhsa_exception_fp_ieee_overflow 0
		.amdhsa_exception_fp_ieee_underflow 0
		.amdhsa_exception_fp_ieee_inexact 0
		.amdhsa_exception_int_div_zero 0
	.end_amdhsa_kernel
	.section	.text._ZL33flash_attn_stream_k_fixup_generalILi64ELi1ELi1EEvPfPK15HIP_vector_typeIfLj2EEiiiiS1_IjLj3EES5_S5_S5_,"axG",@progbits,_ZL33flash_attn_stream_k_fixup_generalILi64ELi1ELi1EEvPfPK15HIP_vector_typeIfLj2EEiiiiS1_IjLj3EES5_S5_S5_,comdat
.Lfunc_end3:
	.size	_ZL33flash_attn_stream_k_fixup_generalILi64ELi1ELi1EEvPfPK15HIP_vector_typeIfLj2EEiiiiS1_IjLj3EES5_S5_S5_, .Lfunc_end3-_ZL33flash_attn_stream_k_fixup_generalILi64ELi1ELi1EEvPfPK15HIP_vector_typeIfLj2EEiiiiS1_IjLj3EES5_S5_S5_
                                        ; -- End function
	.section	.AMDGPU.csdata,"",@progbits
; Kernel info:
; codeLenInByte = 2820
; NumSgprs: 38
; NumVgprs: 22
; NumAgprs: 0
; TotalNumVgprs: 22
; ScratchSize: 0
; MemoryBound: 0
; FloatMode: 240
; IeeeMode: 1
; LDSByteSize: 0 bytes/workgroup (compile time only)
; SGPRBlocks: 4
; VGPRBlocks: 2
; NumSGPRsForWavesPerEU: 38
; NumVGPRsForWavesPerEU: 22
; AccumOffset: 24
; Occupancy: 8
; WaveLimiterHint : 0
; COMPUTE_PGM_RSRC2:SCRATCH_EN: 0
; COMPUTE_PGM_RSRC2:USER_SGPR: 2
; COMPUTE_PGM_RSRC2:TRAP_HANDLER: 0
; COMPUTE_PGM_RSRC2:TGID_X_EN: 1
; COMPUTE_PGM_RSRC2:TGID_Y_EN: 1
; COMPUTE_PGM_RSRC2:TGID_Z_EN: 1
; COMPUTE_PGM_RSRC2:TIDIG_COMP_CNT: 0
; COMPUTE_PGM_RSRC3_GFX90A:ACCUM_OFFSET: 5
; COMPUTE_PGM_RSRC3_GFX90A:TG_SPLIT: 0
	.section	.text._ZL26flash_attn_combine_resultsILi64EEvPKfPK15HIP_vector_typeIfLj2EEPfi,"axG",@progbits,_ZL26flash_attn_combine_resultsILi64EEvPKfPK15HIP_vector_typeIfLj2EEPfi,comdat
	.globl	_ZL26flash_attn_combine_resultsILi64EEvPKfPK15HIP_vector_typeIfLj2EEPfi ; -- Begin function _ZL26flash_attn_combine_resultsILi64EEvPKfPK15HIP_vector_typeIfLj2EEPfi
	.p2align	8
	.type	_ZL26flash_attn_combine_resultsILi64EEvPKfPK15HIP_vector_typeIfLj2EEPfi,@function
_ZL26flash_attn_combine_resultsILi64EEvPKfPK15HIP_vector_typeIfLj2EEPfi: ; @_ZL26flash_attn_combine_resultsILi64EEvPKfPK15HIP_vector_typeIfLj2EEPfi
; %bb.0:
	s_load_dwordx2 s[6:7], s[0:1], 0x20
	s_load_dword s19, s[0:1], 0x18
	s_load_dwordx4 s[8:11], s[0:1], 0x0
	s_load_dwordx2 s[14:15], s[0:1], 0x10
	s_waitcnt lgkmcnt(0)
	s_mul_i32 s0, s6, s4
	s_add_i32 s0, s0, s2
	s_mul_i32 s18, s0, s7
	s_add_i32 s18, s18, s3
	s_lshl_b32 s20, s19, 1
	s_mul_i32 s0, s18, s19
	v_cmp_gt_i32_e32 vcc, s20, v0
	s_and_saveexec_b64 s[2:3], vcc
	s_cbranch_execz .LBB4_13
; %bb.1:
	v_xad_u32 v1, v0, -1, s20
	s_ashr_i32 s1, s0, 31
	v_cmp_lt_u32_e32 vcc, 63, v1
	s_mov_b64 s[6:7], -1
	v_mov_b32_e32 v2, v0
	s_and_saveexec_b64 s[4:5], vcc
	s_cbranch_execz .LBB4_10
; %bb.2:
	v_lshrrev_b32_e32 v6, 6, v1
	s_lshl_b64 s[6:7], s[0:1], 3
	v_add_u32_e32 v2, -1, v6
	s_add_u32 s6, s10, s6
	v_or_b32_e32 v1, 64, v0
	v_lshrrev_b32_e32 v3, 1, v2
	s_addc_u32 s7, s11, s7
	v_add_u32_e32 v7, 1, v3
	v_cmp_lt_u32_e32 vcc, 13, v2
	v_mov_b32_e32 v4, 0
	v_mov_b64_e32 v[2:3], v[0:1]
	s_and_saveexec_b64 s[12:13], vcc
	s_cbranch_execz .LBB4_6
; %bb.3:
	v_and_b32_e32 v8, -8, v7
	s_mov_b32 s21, 0
	v_lshl_add_u32 v9, v0, 2, 0
	s_mov_b64 s[16:17], 0
	v_mov_b32_e32 v5, 0
	v_mov_b64_e32 v[2:3], v[0:1]
.LBB4_4:                                ; =>This Inner Loop Header: Depth=1
	v_mov_b32_e32 v4, v2
	v_lshl_add_u64 v[24:25], v[4:5], 2, s[6:7]
	v_mov_b32_e32 v4, v3
	v_lshl_add_u64 v[26:27], v[4:5], 2, s[6:7]
	v_add_u32_e32 v4, 0x80, v2
	v_add_u32_e32 v10, 0x80, v3
	v_mov_b32_e32 v11, v5
	global_load_dword v1, v[24:25], off
	global_load_dword v28, v[26:27], off
	v_lshl_add_u64 v[24:25], v[4:5], 2, s[6:7]
	v_add_u32_e32 v4, 0x100, v2
	v_lshl_add_u64 v[10:11], v[10:11], 2, s[6:7]
	v_lshl_add_u64 v[26:27], v[4:5], 2, s[6:7]
	v_add_u32_e32 v4, 0x180, v2
	v_add_u32_e32 v12, 0x100, v3
	v_mov_b32_e32 v13, v5
	v_add_u32_e32 v14, 0x180, v3
	v_mov_b32_e32 v15, v5
	global_load_dword v29, v[24:25], off
	global_load_dword v30, v[10:11], off
	v_lshl_add_u64 v[10:11], v[4:5], 2, s[6:7]
	v_add_u32_e32 v4, 0x200, v2
	v_lshl_add_u64 v[12:13], v[12:13], 2, s[6:7]
	v_lshl_add_u64 v[14:15], v[14:15], 2, s[6:7]
	global_load_dword v24, v[26:27], off
	global_load_dword v25, v[12:13], off
	;; [unrolled: 1-line block ×4, first 2 shown]
	v_lshl_add_u64 v[10:11], v[4:5], 2, s[6:7]
	v_add_u32_e32 v4, 0x280, v2
	v_add_u32_e32 v16, 0x200, v3
	v_mov_b32_e32 v17, v5
	v_add_u32_e32 v18, 0x280, v3
	v_mov_b32_e32 v19, v5
	v_lshl_add_u64 v[12:13], v[4:5], 2, s[6:7]
	v_add_u32_e32 v4, 0x300, v2
	v_add_u32_e32 v20, 0x300, v3
	v_mov_b32_e32 v21, v5
	v_add_u32_e32 v22, 0x380, v3
	v_mov_b32_e32 v23, v5
	v_lshl_add_u64 v[16:17], v[16:17], 2, s[6:7]
	v_lshl_add_u64 v[18:19], v[18:19], 2, s[6:7]
	global_load_dword v14, v[10:11], off
	global_load_dword v15, v[16:17], off
	v_lshl_add_u64 v[10:11], v[4:5], 2, s[6:7]
	v_add_u32_e32 v4, 0x380, v2
	v_lshl_add_u64 v[20:21], v[20:21], 2, s[6:7]
	v_lshl_add_u64 v[22:23], v[22:23], 2, s[6:7]
	global_load_dword v16, v[12:13], off
	global_load_dword v17, v[18:19], off
	v_lshl_add_u64 v[12:13], v[4:5], 2, s[6:7]
	global_load_dword v18, v[10:11], off
	global_load_dword v19, v[20:21], off
	;; [unrolled: 1-line block ×4, first 2 shown]
	v_add_u32_e32 v8, -8, v8
	s_add_i32 s21, s21, 16
	v_cmp_eq_u32_e32 vcc, 0, v8
	v_add_u32_e32 v3, 0x400, v3
	v_mov_b32_e32 v4, s21
	s_or_b64 s[16:17], vcc, s[16:17]
	v_add_u32_e32 v2, 0x400, v2
	s_waitcnt vmcnt(14)
	ds_write2st64_b32 v9, v1, v28 offset1:1
	s_waitcnt vmcnt(12)
	ds_write2st64_b32 v9, v29, v30 offset0:2 offset1:3
	s_waitcnt vmcnt(10)
	ds_write2st64_b32 v9, v24, v25 offset0:4 offset1:5
	;; [unrolled: 2-line block ×7, first 2 shown]
	v_add_u32_e32 v9, 0x1000, v9
	s_andn2_b64 exec, exec, s[16:17]
	s_cbranch_execnz .LBB4_4
; %bb.5:
	s_or_b64 exec, exec, s[16:17]
.LBB4_6:
	s_or_b64 exec, exec, s[12:13]
	v_and_b32_e32 v1, 7, v7
	v_cmp_ne_u32_e32 vcc, 0, v1
	s_and_saveexec_b64 s[12:13], vcc
	s_cbranch_execz .LBB4_9
; %bb.7:
	v_lshlrev_b32_e32 v5, 2, v0
	v_lshl_or_b32 v4, v4, 8, v5
	v_add_u32_e32 v7, 0, v4
	s_mov_b64 s[16:17], 0
	v_mov_b32_e32 v5, 0
.LBB4_8:                                ; =>This Inner Loop Header: Depth=1
	v_mov_b32_e32 v4, v2
	v_lshl_add_u64 v[8:9], v[4:5], 2, s[6:7]
	v_mov_b32_e32 v4, v3
	v_lshl_add_u64 v[10:11], v[4:5], 2, s[6:7]
	global_load_dword v4, v[8:9], off
	global_load_dword v12, v[10:11], off
	v_add_u32_e32 v1, -1, v1
	v_cmp_eq_u32_e32 vcc, 0, v1
	v_add_u32_e32 v2, 0x80, v2
	v_add_u32_e32 v3, 0x80, v3
	s_or_b64 s[16:17], vcc, s[16:17]
	s_waitcnt vmcnt(0)
	ds_write2st64_b32 v7, v4, v12 offset1:1
	v_add_u32_e32 v7, 0x200, v7
	s_andn2_b64 exec, exec, s[16:17]
	s_cbranch_execnz .LBB4_8
.LBB4_9:
	s_or_b64 exec, exec, s[12:13]
	v_add_u32_e32 v1, 1, v6
	v_and_b32_e32 v3, 0x7fffffe, v1
	v_cmp_ne_u32_e32 vcc, v1, v3
	v_lshl_or_b32 v2, v3, 6, v0
	s_orn2_b64 s[6:7], vcc, exec
.LBB4_10:
	s_or_b64 exec, exec, s[4:5]
	s_and_b64 exec, exec, s[6:7]
	s_cbranch_execz .LBB4_13
; %bb.11:
	s_lshl_b64 s[4:5], s[0:1], 3
	s_add_u32 s4, s10, s4
	v_mov_b32_e32 v3, 0
	s_addc_u32 s5, s11, s5
	v_lshl_add_u64 v[4:5], v[2:3], 2, s[4:5]
	v_lshl_add_u32 v1, v2, 2, 0
	s_mov_b64 s[4:5], 0
	s_mov_b64 s[6:7], 0x100
.LBB4_12:                               ; =>This Inner Loop Header: Depth=1
	global_load_dword v3, v[4:5], off
	v_add_u32_e32 v2, 64, v2
	v_cmp_le_i32_e32 vcc, s20, v2
	v_lshl_add_u64 v[4:5], v[4:5], 0, s[6:7]
	s_or_b64 s[4:5], vcc, s[4:5]
	s_waitcnt vmcnt(0)
	ds_write_b32 v1, v3
	v_add_u32_e32 v1, 0x100, v1
	s_andn2_b64 exec, exec, s[4:5]
	s_cbranch_execnz .LBB4_12
.LBB4_13:
	s_or_b64 exec, exec, s[2:3]
	v_mov_b32_e32 v1, 0
	s_waitcnt lgkmcnt(0)
	; wave barrier
	s_waitcnt lgkmcnt(0)
	ds_read_b32 v1, v1
	s_cmp_lt_i32 s19, 2
	s_cbranch_scc1 .LBB4_21
; %bb.14:
	s_add_i32 s1, s19, -1
	s_add_i32 s2, s19, -2
	s_cmp_lt_u32 s2, 7
	s_cbranch_scc1 .LBB4_18
; %bb.15:
	s_mov_b32 s4, 0
	s_add_i32 s2, 0, 8
	s_and_b32 s3, s1, -8
.LBB4_16:                               ; =>This Inner Loop Header: Depth=1
	v_mov_b32_e32 v8, s2
	ds_read2_b32 v[2:3], v8 offset1:2
	ds_read2_b32 v[4:5], v8 offset0:4 offset1:6
	ds_read2_b32 v[6:7], v8 offset0:8 offset1:10
	;; [unrolled: 1-line block ×3, first 2 shown]
	s_mov_b32 s5, s4
	s_waitcnt lgkmcnt(3)
	v_max3_f32 v1, v1, v2, v3
	s_waitcnt lgkmcnt(2)
	v_max3_f32 v1, v1, v4, v5
	s_add_i32 s2, s2, 64
	s_add_i32 s4, s4, 8
	s_waitcnt lgkmcnt(1)
	v_max3_f32 v1, v1, v6, v7
	s_cmp_eq_u32 s3, s4
	s_waitcnt lgkmcnt(0)
	v_max3_f32 v1, v1, v8, v9
	s_cbranch_scc0 .LBB4_16
; %bb.17:
	s_add_i32 s2, s5, 9
	s_and_b32 s1, s1, 7
	s_cmp_eq_u32 s1, 0
	s_cbranch_scc0 .LBB4_19
	s_branch .LBB4_21
.LBB4_18:
	s_mov_b32 s2, 1
	s_and_b32 s1, s1, 7
	s_cmp_eq_u32 s1, 0
	s_cbranch_scc1 .LBB4_21
.LBB4_19:
	s_lshl_b32 s2, s2, 3
	s_add_i32 s2, s2, 0
.LBB4_20:                               ; =>This Inner Loop Header: Depth=1
	v_mov_b32_e32 v2, s2
	ds_read_b32 v2, v2
	s_waitcnt lgkmcnt(1)
	v_max_f32_e32 v1, v1, v1
	s_add_i32 s2, s2, 8
	s_add_i32 s1, s1, -1
	s_cmp_lg_u32 s1, 0
	s_waitcnt lgkmcnt(0)
	v_max_f32_e32 v2, v2, v2
	v_max_f32_e32 v1, v1, v2
	s_cbranch_scc1 .LBB4_20
.LBB4_21:
	s_cmp_lt_i32 s19, 1
	s_cbranch_scc1 .LBB4_26
; %bb.22:
	s_lshl_b32 s0, s0, 6
	s_ashr_i32 s1, s0, 31
	s_lshl_b64 s[0:1], s[0:1], 2
	s_add_u32 s16, s8, s0
	s_addc_u32 s17, s9, s1
	s_cmp_lt_u32 s19, 8
	v_mov_b32_e32 v6, 0
	s_cbranch_scc1 .LBB4_27
; %bb.23:
	s_and_b32 s20, s19, 0x7ffffff8
	v_or_b32_e32 v2, 0x1c0, v0
	s_mov_b32 s21, 0
	v_mov_b32_e32 v5, 0
	s_mov_b32 s22, 0x3fb8aa3b
	s_mov_b32 s23, 0xc2ce8ed0
	;; [unrolled: 1-line block ×3, first 2 shown]
	v_mov_b32_e32 v8, 0x7f800000
	s_mov_b32 s25, 0
	v_mov_b32_e32 v7, 0
	v_mov_b32_e32 v6, 0
.LBB4_24:                               ; =>This Inner Loop Header: Depth=1
	v_add_u32_e32 v4, 0xfffffe40, v2
	v_mov_b32_e32 v9, s21
	v_mov_b32_e32 v3, v5
	v_lshl_add_u64 v[26:27], v[4:5], 2, s[16:17]
	v_add_u32_e32 v4, 0xfffffe80, v2
	ds_read2_b64 v[10:13], v9 offset1:1
	ds_read2_b64 v[14:17], v9 offset0:2 offset1:3
	ds_read2_b64 v[18:21], v9 offset0:4 offset1:5
	;; [unrolled: 1-line block ×3, first 2 shown]
	v_lshl_add_u64 v[28:29], v[2:3], 2, s[16:17]
	v_lshl_add_u64 v[30:31], v[4:5], 2, s[16:17]
	v_add_u32_e32 v4, 0xfffffec0, v2
	global_load_dword v3, v[26:27], off
	global_load_dword v9, v[30:31], off
	s_waitcnt lgkmcnt(3)
	v_sub_f32_e32 v10, v10, v1
	global_load_dword v28, v[28:29], off
	v_lshl_add_u64 v[26:27], v[4:5], 2, s[16:17]
	global_load_dword v32, v[26:27], off
	v_add_u32_e32 v4, 0xffffff00, v2
	v_lshl_add_u64 v[30:31], v[4:5], 2, s[16:17]
	v_add_u32_e32 v4, 0xffffff40, v2
	v_lshl_add_u64 v[26:27], v[4:5], 2, s[16:17]
	v_add_u32_e32 v4, 0xffffff80, v2
	global_load_dword v33, v[30:31], off
	global_load_dword v34, v[26:27], off
	v_lshl_add_u64 v[30:31], v[4:5], 2, s[16:17]
	v_subrev_u32_e32 v4, 64, v2
	v_lshl_add_u64 v[26:27], v[4:5], 2, s[16:17]
	global_load_dword v30, v[30:31], off
	v_sub_f32_e32 v12, v12, v1
	global_load_dword v26, v[26:27], off
	v_mul_f32_e32 v35, 0x3fb8aa3b, v10
	v_mul_f32_e32 v36, 0x3fb8aa3b, v12
	s_waitcnt lgkmcnt(2)
	v_sub_f32_e32 v14, v14, v1
	v_sub_f32_e32 v16, v16, v1
	s_waitcnt lgkmcnt(1)
	v_sub_f32_e32 v18, v18, v1
	v_sub_f32_e32 v20, v20, v1
	s_waitcnt lgkmcnt(0)
	v_sub_f32_e32 v22, v22, v1
	v_fma_f32 v31, v10, s22, -v35
	v_rndne_f32_e32 v42, v35
	v_fma_f32 v43, v12, s22, -v36
	v_rndne_f32_e32 v44, v36
	v_mul_f32_e32 v37, 0x3fb8aa3b, v14
	v_mul_f32_e32 v38, 0x3fb8aa3b, v16
	;; [unrolled: 1-line block ×5, first 2 shown]
	v_fmac_f32_e32 v31, 0x32a5705f, v10
	v_sub_f32_e32 v35, v35, v42
	v_fmac_f32_e32 v43, 0x32a5705f, v12
	v_sub_f32_e32 v36, v36, v44
	v_fma_f32 v45, v14, s22, -v37
	v_rndne_f32_e32 v46, v37
	v_fma_f32 v47, v16, s22, -v38
	v_rndne_f32_e32 v48, v38
	;; [unrolled: 2-line block ×4, first 2 shown]
	v_add_f32_e32 v31, v35, v31
	v_fma_f32 v35, v22, s22, -v41
	v_add_f32_e32 v36, v36, v43
	v_rndne_f32_e32 v43, v41
	v_fmac_f32_e32 v45, 0x32a5705f, v14
	v_sub_f32_e32 v37, v37, v46
	v_fmac_f32_e32 v47, 0x32a5705f, v16
	v_sub_f32_e32 v38, v38, v48
	v_cvt_i32_f32_e32 v42, v42
	v_fmac_f32_e32 v49, 0x32a5705f, v18
	v_sub_f32_e32 v39, v39, v50
	v_fmac_f32_e32 v27, 0x32a5705f, v20
	v_sub_f32_e32 v40, v40, v29
	;; [unrolled: 2-line block ×3, first 2 shown]
	v_exp_f32_e32 v31, v31
	v_add_f32_e32 v37, v37, v45
	v_add_f32_e32 v38, v38, v47
	v_cvt_i32_f32_e32 v44, v44
	v_add_f32_e32 v39, v39, v49
	v_add_f32_e32 v27, v40, v27
	v_add_f32_e32 v35, v41, v35
	v_exp_f32_e32 v36, v36
	v_sub_f32_e32 v24, v24, v1
	v_cvt_i32_f32_e32 v46, v46
	v_cvt_i32_f32_e32 v48, v48
	;; [unrolled: 1-line block ×5, first 2 shown]
	v_exp_f32_e32 v37, v37
	v_exp_f32_e32 v38, v38
	;; [unrolled: 1-line block ×5, first 2 shown]
	v_mul_f32_e32 v4, 0x3fb8aa3b, v24
	v_fma_f32 v45, v24, s22, -v4
	v_rndne_f32_e32 v47, v4
	v_ldexp_f32 v31, v31, v42
	v_cmp_ngt_f32_e64 s[12:13], s23, v10
	v_fmac_f32_e32 v45, 0x32a5705f, v24
	v_sub_f32_e32 v4, v4, v47
	v_ldexp_f32 v36, v36, v44
	v_cmp_ngt_f32_e32 vcc, s23, v12
	v_cndmask_b32_e64 v31, 0, v31, s[12:13]
	v_cmp_nlt_f32_e64 s[12:13], s24, v10
	v_add_f32_e32 v4, v4, v45
	v_ldexp_f32 v37, v37, v46
	v_cmp_ngt_f32_e64 s[0:1], s23, v14
	v_ldexp_f32 v38, v38, v48
	v_cmp_ngt_f32_e64 s[2:3], s23, v16
	;; [unrolled: 2-line block ×5, first 2 shown]
	v_cndmask_b32_e32 v35, 0, v36, vcc
	v_cmp_nlt_f32_e32 vcc, s24, v12
	v_cndmask_b32_e64 v10, v8, v31, s[12:13]
	v_cvt_i32_f32_e32 v47, v47
	v_exp_f32_e32 v4, v4
	v_cndmask_b32_e64 v12, 0, v37, s[0:1]
	v_cmp_nlt_f32_e64 s[0:1], s24, v14
	v_cndmask_b32_e64 v14, 0, v38, s[2:3]
	v_cmp_nlt_f32_e64 s[2:3], s24, v16
	;; [unrolled: 2-line block ×5, first 2 shown]
	v_cndmask_b32_e32 v22, v8, v35, vcc
	v_fmac_f32_e32 v7, v10, v11
	s_waitcnt vmcnt(7)
	v_fmac_f32_e32 v6, v3, v10
	v_cndmask_b32_e64 v12, v8, v12, s[0:1]
	v_fmac_f32_e32 v7, v22, v13
	s_waitcnt vmcnt(6)
	v_fmac_f32_e32 v6, v9, v22
	v_cndmask_b32_e64 v14, v8, v14, s[2:3]
	;; [unrolled: 4-line block ×3, first 2 shown]
	v_fmac_f32_e32 v7, v14, v17
	s_waitcnt vmcnt(3)
	v_fmac_f32_e32 v6, v33, v14
	v_ldexp_f32 v4, v4, v47
	v_cmp_ngt_f32_e64 s[10:11], s23, v24
	v_cndmask_b32_e64 v18, v8, v18, s[6:7]
	v_fmac_f32_e32 v7, v16, v19
	s_waitcnt vmcnt(2)
	v_fmac_f32_e32 v6, v34, v16
	v_cndmask_b32_e64 v4, 0, v4, s[10:11]
	v_cmp_nlt_f32_e64 s[10:11], s24, v24
	v_cndmask_b32_e64 v20, v8, v20, s[8:9]
	v_fmac_f32_e32 v7, v18, v21
	s_waitcnt vmcnt(1)
	v_fmac_f32_e32 v6, v30, v18
	s_add_i32 s25, s25, 8
	s_add_i32 s21, s21, 64
	v_cndmask_b32_e64 v4, v8, v4, s[10:11]
	v_fmac_f32_e32 v7, v20, v23
	s_waitcnt vmcnt(0)
	v_fmac_f32_e32 v6, v26, v20
	s_cmp_eq_u32 s20, s25
	v_add_u32_e32 v2, 0x200, v2
	v_fmac_f32_e32 v7, v4, v25
	v_fmac_f32_e32 v6, v28, v4
	s_cbranch_scc0 .LBB4_24
; %bb.25:
	s_and_b32 s0, s19, 7
	s_cmp_eq_u32 s0, 0
	s_cbranch_scc0 .LBB4_28
	s_branch .LBB4_30
.LBB4_26:
	s_waitcnt lgkmcnt(0)
	v_mov_b32_e32 v1, 0x7fc00000
	s_branch .LBB4_31
.LBB4_27:
	s_mov_b32 s20, 0
	v_mov_b32_e32 v7, 0
	s_and_b32 s0, s19, 7
	s_cmp_eq_u32 s0, 0
	s_cbranch_scc1 .LBB4_30
.LBB4_28:
	s_lshl_b32 s1, s20, 3
	v_lshl_or_b32 v2, s20, 6, v0
	s_add_i32 s1, s1, 0
	s_mov_b32 s2, 0x3fb8aa3b
	s_mov_b32 s3, 0xc2ce8ed0
	;; [unrolled: 1-line block ×3, first 2 shown]
	v_mov_b32_e32 v4, 0x7f800000
	v_mov_b32_e32 v3, 0
.LBB4_29:                               ; =>This Inner Loop Header: Depth=1
	v_lshl_add_u64 v[8:9], v[2:3], 2, s[16:17]
	global_load_dword v5, v[8:9], off
	v_mov_b32_e32 v8, s1
	ds_read_b64 v[8:9], v8
	s_add_i32 s1, s1, 8
	s_add_i32 s0, s0, -1
	v_add_u32_e32 v2, 64, v2
	s_cmp_lg_u32 s0, 0
	s_waitcnt lgkmcnt(0)
	v_sub_f32_e32 v8, v8, v1
	v_mul_f32_e32 v10, 0x3fb8aa3b, v8
	v_fma_f32 v11, v8, s2, -v10
	v_rndne_f32_e32 v12, v10
	v_fmac_f32_e32 v11, 0x32a5705f, v8
	v_sub_f32_e32 v10, v10, v12
	v_add_f32_e32 v10, v10, v11
	v_cvt_i32_f32_e32 v12, v12
	v_exp_f32_e32 v10, v10
	v_cmp_ngt_f32_e32 vcc, s3, v8
	v_ldexp_f32 v10, v10, v12
	s_nop 0
	v_cndmask_b32_e32 v10, 0, v10, vcc
	v_cmp_nlt_f32_e32 vcc, s4, v8
	s_nop 1
	v_cndmask_b32_e32 v8, v4, v10, vcc
	v_fmac_f32_e32 v7, v8, v9
	s_waitcnt vmcnt(0)
	v_fmac_f32_e32 v6, v5, v8
	s_cbranch_scc1 .LBB4_29
.LBB4_30:
	s_waitcnt lgkmcnt(0)
	v_div_scale_f32 v1, s[0:1], v7, v7, v6
	v_rcp_f32_e32 v2, v1
	v_div_scale_f32 v3, vcc, v6, v7, v6
	v_fma_f32 v4, -v1, v2, 1.0
	v_fmac_f32_e32 v2, v4, v2
	v_mul_f32_e32 v4, v3, v2
	v_fma_f32 v5, -v1, v4, v3
	v_fmac_f32_e32 v4, v5, v2
	v_fma_f32 v1, -v1, v4, v3
	v_div_fmas_f32 v1, v1, v2, v4
	v_div_fixup_f32 v1, v1, v7, v6
.LBB4_31:
	s_lshl_b32 s0, s18, 6
	s_ashr_i32 s1, s0, 31
	s_lshl_b64 s[0:1], s[0:1], 2
	s_add_u32 s0, s14, s0
	s_addc_u32 s1, s15, s1
	v_lshlrev_b32_e32 v0, 2, v0
	global_store_dword v0, v1, s[0:1]
	s_endpgm
	.section	.rodata,"a",@progbits
	.p2align	6, 0x0
	.amdhsa_kernel _ZL26flash_attn_combine_resultsILi64EEvPKfPK15HIP_vector_typeIfLj2EEPfi
		.amdhsa_group_segment_fixed_size 0
		.amdhsa_private_segment_fixed_size 0
		.amdhsa_kernarg_size 288
		.amdhsa_user_sgpr_count 2
		.amdhsa_user_sgpr_dispatch_ptr 0
		.amdhsa_user_sgpr_queue_ptr 0
		.amdhsa_user_sgpr_kernarg_segment_ptr 1
		.amdhsa_user_sgpr_dispatch_id 0
		.amdhsa_user_sgpr_kernarg_preload_length 0
		.amdhsa_user_sgpr_kernarg_preload_offset 0
		.amdhsa_user_sgpr_private_segment_size 0
		.amdhsa_uses_dynamic_stack 0
		.amdhsa_enable_private_segment 0
		.amdhsa_system_sgpr_workgroup_id_x 1
		.amdhsa_system_sgpr_workgroup_id_y 1
		.amdhsa_system_sgpr_workgroup_id_z 1
		.amdhsa_system_sgpr_workgroup_info 0
		.amdhsa_system_vgpr_workitem_id 0
		.amdhsa_next_free_vgpr 51
		.amdhsa_next_free_sgpr 26
		.amdhsa_accum_offset 52
		.amdhsa_reserve_vcc 1
		.amdhsa_float_round_mode_32 0
		.amdhsa_float_round_mode_16_64 0
		.amdhsa_float_denorm_mode_32 3
		.amdhsa_float_denorm_mode_16_64 3
		.amdhsa_dx10_clamp 1
		.amdhsa_ieee_mode 1
		.amdhsa_fp16_overflow 0
		.amdhsa_tg_split 0
		.amdhsa_exception_fp_ieee_invalid_op 0
		.amdhsa_exception_fp_denorm_src 0
		.amdhsa_exception_fp_ieee_div_zero 0
		.amdhsa_exception_fp_ieee_overflow 0
		.amdhsa_exception_fp_ieee_underflow 0
		.amdhsa_exception_fp_ieee_inexact 0
		.amdhsa_exception_int_div_zero 0
	.end_amdhsa_kernel
	.section	.text._ZL26flash_attn_combine_resultsILi64EEvPKfPK15HIP_vector_typeIfLj2EEPfi,"axG",@progbits,_ZL26flash_attn_combine_resultsILi64EEvPKfPK15HIP_vector_typeIfLj2EEPfi,comdat
.Lfunc_end4:
	.size	_ZL26flash_attn_combine_resultsILi64EEvPKfPK15HIP_vector_typeIfLj2EEPfi, .Lfunc_end4-_ZL26flash_attn_combine_resultsILi64EEvPKfPK15HIP_vector_typeIfLj2EEPfi
                                        ; -- End function
	.section	.AMDGPU.csdata,"",@progbits
; Kernel info:
; codeLenInByte = 2788
; NumSgprs: 32
; NumVgprs: 51
; NumAgprs: 0
; TotalNumVgprs: 51
; ScratchSize: 0
; MemoryBound: 0
; FloatMode: 240
; IeeeMode: 1
; LDSByteSize: 0 bytes/workgroup (compile time only)
; SGPRBlocks: 3
; VGPRBlocks: 6
; NumSGPRsForWavesPerEU: 32
; NumVGPRsForWavesPerEU: 51
; AccumOffset: 52
; Occupancy: 8
; WaveLimiterHint : 0
; COMPUTE_PGM_RSRC2:SCRATCH_EN: 0
; COMPUTE_PGM_RSRC2:USER_SGPR: 2
; COMPUTE_PGM_RSRC2:TRAP_HANDLER: 0
; COMPUTE_PGM_RSRC2:TGID_X_EN: 1
; COMPUTE_PGM_RSRC2:TGID_Y_EN: 1
; COMPUTE_PGM_RSRC2:TGID_Z_EN: 1
; COMPUTE_PGM_RSRC2:TIDIG_COMP_CNT: 0
; COMPUTE_PGM_RSRC3_GFX90A:ACCUM_OFFSET: 12
; COMPUTE_PGM_RSRC3_GFX90A:TG_SPLIT: 0
	.text
	.p2align	2                               ; -- Begin function __ockl_printf_append_string_n
	.type	__ockl_printf_append_string_n,@function
__ockl_printf_append_string_n:          ; @__ockl_printf_append_string_n
; %bb.0:
	s_waitcnt vmcnt(0) expcnt(0) lgkmcnt(0)
	v_mov_b32_e32 v7, v3
	v_mov_b32_e32 v6, v2
	;; [unrolled: 1-line block ×3, first 2 shown]
	s_mov_b64 s[2:3], 0
	v_cmp_ne_u64_e32 vcc, 0, v[6:7]
	v_mbcnt_lo_u32_b32 v3, -1, 0
	s_and_saveexec_b64 s[0:1], vcc
	s_xor_b64 s[4:5], exec, s[0:1]
	s_cbranch_execz .LBB5_86
; %bb.1:
	s_load_dwordx2 s[6:7], s[8:9], 0x50
	v_and_b32_e32 v28, 2, v2
	s_mov_b32 s18, 0
	v_mov_b32_e32 v31, 0
	v_and_b32_e32 v0, -3, v2
	v_mbcnt_hi_u32_b32 v32, -1, v3
	s_movk_i32 s19, 0xff1f
	v_mov_b32_e32 v10, 2
	v_mov_b32_e32 v11, 1
	s_branch .LBB5_3
.LBB5_2:                                ;   in Loop: Header=BB5_3 Depth=1
	s_or_b64 exec, exec, s[12:13]
	v_sub_co_u32_e32 v4, vcc, v4, v34
	v_lshl_add_u64 v[6:7], v[6:7], 0, v[34:35]
	s_nop 0
	v_subb_co_u32_e32 v5, vcc, v5, v35, vcc
	v_cmp_eq_u64_e32 vcc, 0, v[4:5]
	s_or_b64 s[2:3], vcc, s[2:3]
	s_andn2_b64 exec, exec, s[2:3]
	s_cbranch_execz .LBB5_85
.LBB5_3:                                ; =>This Loop Header: Depth=1
                                        ;     Child Loop BB5_6 Depth 2
                                        ;     Child Loop BB5_14 Depth 2
	;; [unrolled: 1-line block ×11, first 2 shown]
	v_cmp_gt_u64_e32 vcc, 56, v[4:5]
                                        ; implicit-def: $vgpr2_vgpr3
                                        ; implicit-def: $sgpr10
	s_nop 1
	v_cndmask_b32_e32 v35, 0, v5, vcc
	v_cndmask_b32_e32 v34, 56, v4, vcc
	v_cmp_gt_u64_e32 vcc, 8, v[4:5]
	s_and_saveexec_b64 s[0:1], vcc
	s_xor_b64 s[0:1], exec, s[0:1]
	s_cbranch_execz .LBB5_9
; %bb.4:                                ;   in Loop: Header=BB5_3 Depth=1
	s_mov_b64 s[12:13], 0
	v_cmp_ne_u64_e32 vcc, 0, v[4:5]
	s_waitcnt vmcnt(0)
	v_mov_b64_e32 v[2:3], 0
	s_and_saveexec_b64 s[10:11], vcc
	s_cbranch_execz .LBB5_8
; %bb.5:                                ;   in Loop: Header=BB5_3 Depth=1
	v_lshlrev_b64 v[8:9], 3, v[34:35]
	v_mov_b64_e32 v[2:3], 0
	v_mov_b64_e32 v[12:13], v[6:7]
	s_mov_b64 s[14:15], 0
.LBB5_6:                                ;   Parent Loop BB5_3 Depth=1
                                        ; =>  This Inner Loop Header: Depth=2
	flat_load_ubyte v9, v[12:13]
	v_mov_b32_e32 v15, s18
	v_lshl_add_u64 v[12:13], v[12:13], 0, 1
	s_waitcnt vmcnt(0) lgkmcnt(0)
	v_and_b32_e32 v14, 0xffff, v9
	v_lshlrev_b64 v[14:15], s14, v[14:15]
	s_add_u32 s14, s14, 8
	s_addc_u32 s15, s15, 0
	v_cmp_eq_u32_e32 vcc, s14, v8
	v_or_b32_e32 v3, v15, v3
	s_or_b64 s[12:13], vcc, s[12:13]
	v_or_b32_e32 v2, v14, v2
	s_andn2_b64 exec, exec, s[12:13]
	s_cbranch_execnz .LBB5_6
; %bb.7:                                ;   in Loop: Header=BB5_3 Depth=1
	s_or_b64 exec, exec, s[12:13]
.LBB5_8:                                ;   in Loop: Header=BB5_3 Depth=1
	s_or_b64 exec, exec, s[10:11]
	s_mov_b32 s10, 0
.LBB5_9:                                ;   in Loop: Header=BB5_3 Depth=1
	s_or_saveexec_b64 s[0:1], s[0:1]
	v_mov_b32_e32 v14, s10
	v_mov_b64_e32 v[8:9], v[6:7]
	s_xor_b64 exec, exec, s[0:1]
	s_cbranch_execz .LBB5_11
; %bb.10:                               ;   in Loop: Header=BB5_3 Depth=1
	s_waitcnt vmcnt(0)
	flat_load_dwordx2 v[2:3], v[6:7]
	v_add_u32_e32 v14, -8, v34
	s_waitcnt vmcnt(0) lgkmcnt(0)
	v_and_b32_e32 v8, 0xff, v3
	v_and_b32_e32 v9, 0xff00, v3
	;; [unrolled: 1-line block ×4, first 2 shown]
	v_or_b32_e32 v8, v8, v9
	v_or3_b32 v2, v2, 0, 0
	v_or3_b32 v3, v8, v12, v3
	v_lshl_add_u64 v[8:9], v[6:7], 0, 8
.LBB5_11:                               ;   in Loop: Header=BB5_3 Depth=1
	s_or_b64 exec, exec, s[0:1]
	v_cmp_gt_u32_e32 vcc, 8, v14
                                        ; implicit-def: $vgpr12_vgpr13
                                        ; implicit-def: $sgpr10
	s_and_saveexec_b64 s[0:1], vcc
	s_xor_b64 s[0:1], exec, s[0:1]
	s_cbranch_execz .LBB5_17
; %bb.12:                               ;   in Loop: Header=BB5_3 Depth=1
	v_cmp_ne_u32_e32 vcc, 0, v14
	v_mov_b64_e32 v[12:13], 0
	s_and_saveexec_b64 s[10:11], vcc
	s_cbranch_execz .LBB5_16
; %bb.13:                               ;   in Loop: Header=BB5_3 Depth=1
	s_mov_b64 s[12:13], 0
	v_mov_b64_e32 v[12:13], 0
	s_mov_b64 s[14:15], 0
	s_mov_b64 s[16:17], 0
.LBB5_14:                               ;   Parent Loop BB5_3 Depth=1
                                        ; =>  This Inner Loop Header: Depth=2
	v_lshl_add_u64 v[16:17], v[8:9], 0, s[16:17]
	flat_load_ubyte v15, v[16:17]
	s_add_u32 s16, s16, 1
	v_mov_b32_e32 v17, s18
	s_addc_u32 s17, s17, 0
	v_cmp_eq_u32_e32 vcc, s16, v14
	s_waitcnt vmcnt(0) lgkmcnt(0)
	v_and_b32_e32 v16, 0xffff, v15
	v_lshlrev_b64 v[16:17], s14, v[16:17]
	s_add_u32 s14, s14, 8
	s_addc_u32 s15, s15, 0
	v_or_b32_e32 v13, v17, v13
	s_or_b64 s[12:13], vcc, s[12:13]
	v_or_b32_e32 v12, v16, v12
	s_andn2_b64 exec, exec, s[12:13]
	s_cbranch_execnz .LBB5_14
; %bb.15:                               ;   in Loop: Header=BB5_3 Depth=1
	s_or_b64 exec, exec, s[12:13]
.LBB5_16:                               ;   in Loop: Header=BB5_3 Depth=1
	s_or_b64 exec, exec, s[10:11]
	s_mov_b32 s10, 0
                                        ; implicit-def: $vgpr14
.LBB5_17:                               ;   in Loop: Header=BB5_3 Depth=1
	s_or_saveexec_b64 s[0:1], s[0:1]
	v_mov_b32_e32 v16, s10
	s_xor_b64 exec, exec, s[0:1]
	s_cbranch_execz .LBB5_19
; %bb.18:                               ;   in Loop: Header=BB5_3 Depth=1
	flat_load_dwordx2 v[12:13], v[8:9]
	v_add_u32_e32 v16, -8, v14
	v_lshl_add_u64 v[8:9], v[8:9], 0, 8
	s_waitcnt vmcnt(0) lgkmcnt(0)
	v_and_b32_e32 v14, 0xff, v13
	v_and_b32_e32 v15, 0xff00, v13
	;; [unrolled: 1-line block ×4, first 2 shown]
	v_or_b32_e32 v14, v14, v15
	v_or3_b32 v12, v12, 0, 0
	v_or3_b32 v13, v14, v17, v13
.LBB5_19:                               ;   in Loop: Header=BB5_3 Depth=1
	s_or_b64 exec, exec, s[0:1]
	v_cmp_gt_u32_e32 vcc, 8, v16
                                        ; implicit-def: $sgpr10
	s_and_saveexec_b64 s[0:1], vcc
	s_xor_b64 s[0:1], exec, s[0:1]
	s_cbranch_execz .LBB5_25
; %bb.20:                               ;   in Loop: Header=BB5_3 Depth=1
	v_cmp_ne_u32_e32 vcc, 0, v16
	v_mov_b64_e32 v[14:15], 0
	s_and_saveexec_b64 s[10:11], vcc
	s_cbranch_execz .LBB5_24
; %bb.21:                               ;   in Loop: Header=BB5_3 Depth=1
	s_mov_b64 s[12:13], 0
	v_mov_b64_e32 v[14:15], 0
	s_mov_b64 s[14:15], 0
	s_mov_b64 s[16:17], 0
.LBB5_22:                               ;   Parent Loop BB5_3 Depth=1
                                        ; =>  This Inner Loop Header: Depth=2
	v_lshl_add_u64 v[18:19], v[8:9], 0, s[16:17]
	flat_load_ubyte v17, v[18:19]
	s_add_u32 s16, s16, 1
	v_mov_b32_e32 v19, s18
	s_addc_u32 s17, s17, 0
	v_cmp_eq_u32_e32 vcc, s16, v16
	s_waitcnt vmcnt(0) lgkmcnt(0)
	v_and_b32_e32 v18, 0xffff, v17
	v_lshlrev_b64 v[18:19], s14, v[18:19]
	s_add_u32 s14, s14, 8
	s_addc_u32 s15, s15, 0
	v_or_b32_e32 v15, v19, v15
	s_or_b64 s[12:13], vcc, s[12:13]
	v_or_b32_e32 v14, v18, v14
	s_andn2_b64 exec, exec, s[12:13]
	s_cbranch_execnz .LBB5_22
; %bb.23:                               ;   in Loop: Header=BB5_3 Depth=1
	s_or_b64 exec, exec, s[12:13]
.LBB5_24:                               ;   in Loop: Header=BB5_3 Depth=1
	s_or_b64 exec, exec, s[10:11]
	s_mov_b32 s10, 0
                                        ; implicit-def: $vgpr16
.LBB5_25:                               ;   in Loop: Header=BB5_3 Depth=1
	s_or_saveexec_b64 s[0:1], s[0:1]
	v_mov_b32_e32 v18, s10
	s_xor_b64 exec, exec, s[0:1]
	s_cbranch_execz .LBB5_27
; %bb.26:                               ;   in Loop: Header=BB5_3 Depth=1
	flat_load_dwordx2 v[14:15], v[8:9]
	v_add_u32_e32 v18, -8, v16
	v_lshl_add_u64 v[8:9], v[8:9], 0, 8
	s_waitcnt vmcnt(0) lgkmcnt(0)
	v_and_b32_e32 v16, 0xff, v15
	v_and_b32_e32 v17, 0xff00, v15
	;; [unrolled: 1-line block ×4, first 2 shown]
	v_or_b32_e32 v16, v16, v17
	v_or3_b32 v14, v14, 0, 0
	v_or3_b32 v15, v16, v19, v15
.LBB5_27:                               ;   in Loop: Header=BB5_3 Depth=1
	s_or_b64 exec, exec, s[0:1]
	v_cmp_gt_u32_e32 vcc, 8, v18
                                        ; implicit-def: $vgpr16_vgpr17
                                        ; implicit-def: $sgpr10
	s_and_saveexec_b64 s[0:1], vcc
	s_xor_b64 s[0:1], exec, s[0:1]
	s_cbranch_execz .LBB5_33
; %bb.28:                               ;   in Loop: Header=BB5_3 Depth=1
	v_cmp_ne_u32_e32 vcc, 0, v18
	v_mov_b64_e32 v[16:17], 0
	s_and_saveexec_b64 s[10:11], vcc
	s_cbranch_execz .LBB5_32
; %bb.29:                               ;   in Loop: Header=BB5_3 Depth=1
	s_mov_b64 s[12:13], 0
	v_mov_b64_e32 v[16:17], 0
	s_mov_b64 s[14:15], 0
	s_mov_b64 s[16:17], 0
.LBB5_30:                               ;   Parent Loop BB5_3 Depth=1
                                        ; =>  This Inner Loop Header: Depth=2
	v_lshl_add_u64 v[20:21], v[8:9], 0, s[16:17]
	flat_load_ubyte v19, v[20:21]
	s_add_u32 s16, s16, 1
	v_mov_b32_e32 v21, s18
	s_addc_u32 s17, s17, 0
	v_cmp_eq_u32_e32 vcc, s16, v18
	s_waitcnt vmcnt(0) lgkmcnt(0)
	v_and_b32_e32 v20, 0xffff, v19
	v_lshlrev_b64 v[20:21], s14, v[20:21]
	s_add_u32 s14, s14, 8
	s_addc_u32 s15, s15, 0
	v_or_b32_e32 v17, v21, v17
	s_or_b64 s[12:13], vcc, s[12:13]
	v_or_b32_e32 v16, v20, v16
	s_andn2_b64 exec, exec, s[12:13]
	s_cbranch_execnz .LBB5_30
; %bb.31:                               ;   in Loop: Header=BB5_3 Depth=1
	s_or_b64 exec, exec, s[12:13]
.LBB5_32:                               ;   in Loop: Header=BB5_3 Depth=1
	s_or_b64 exec, exec, s[10:11]
	s_mov_b32 s10, 0
                                        ; implicit-def: $vgpr18
.LBB5_33:                               ;   in Loop: Header=BB5_3 Depth=1
	s_or_saveexec_b64 s[0:1], s[0:1]
	v_mov_b32_e32 v20, s10
	s_xor_b64 exec, exec, s[0:1]
	s_cbranch_execz .LBB5_35
; %bb.34:                               ;   in Loop: Header=BB5_3 Depth=1
	flat_load_dwordx2 v[16:17], v[8:9]
	v_add_u32_e32 v20, -8, v18
	v_lshl_add_u64 v[8:9], v[8:9], 0, 8
	s_waitcnt vmcnt(0) lgkmcnt(0)
	v_and_b32_e32 v18, 0xff, v17
	v_and_b32_e32 v19, 0xff00, v17
	;; [unrolled: 1-line block ×4, first 2 shown]
	v_or_b32_e32 v18, v18, v19
	v_or3_b32 v16, v16, 0, 0
	v_or3_b32 v17, v18, v21, v17
.LBB5_35:                               ;   in Loop: Header=BB5_3 Depth=1
	s_or_b64 exec, exec, s[0:1]
	v_cmp_gt_u32_e32 vcc, 8, v20
                                        ; implicit-def: $sgpr10
	s_and_saveexec_b64 s[0:1], vcc
	s_xor_b64 s[0:1], exec, s[0:1]
	s_cbranch_execz .LBB5_41
; %bb.36:                               ;   in Loop: Header=BB5_3 Depth=1
	v_cmp_ne_u32_e32 vcc, 0, v20
	v_mov_b64_e32 v[18:19], 0
	s_and_saveexec_b64 s[10:11], vcc
	s_cbranch_execz .LBB5_40
; %bb.37:                               ;   in Loop: Header=BB5_3 Depth=1
	s_mov_b64 s[12:13], 0
	v_mov_b64_e32 v[18:19], 0
	s_mov_b64 s[14:15], 0
	s_mov_b64 s[16:17], 0
.LBB5_38:                               ;   Parent Loop BB5_3 Depth=1
                                        ; =>  This Inner Loop Header: Depth=2
	v_lshl_add_u64 v[22:23], v[8:9], 0, s[16:17]
	flat_load_ubyte v21, v[22:23]
	s_add_u32 s16, s16, 1
	v_mov_b32_e32 v23, s18
	s_addc_u32 s17, s17, 0
	v_cmp_eq_u32_e32 vcc, s16, v20
	s_waitcnt vmcnt(0) lgkmcnt(0)
	v_and_b32_e32 v22, 0xffff, v21
	v_lshlrev_b64 v[22:23], s14, v[22:23]
	s_add_u32 s14, s14, 8
	s_addc_u32 s15, s15, 0
	v_or_b32_e32 v19, v23, v19
	s_or_b64 s[12:13], vcc, s[12:13]
	v_or_b32_e32 v18, v22, v18
	s_andn2_b64 exec, exec, s[12:13]
	s_cbranch_execnz .LBB5_38
; %bb.39:                               ;   in Loop: Header=BB5_3 Depth=1
	s_or_b64 exec, exec, s[12:13]
.LBB5_40:                               ;   in Loop: Header=BB5_3 Depth=1
	s_or_b64 exec, exec, s[10:11]
	s_mov_b32 s10, 0
                                        ; implicit-def: $vgpr20
.LBB5_41:                               ;   in Loop: Header=BB5_3 Depth=1
	s_or_saveexec_b64 s[0:1], s[0:1]
	v_mov_b32_e32 v22, s10
	s_xor_b64 exec, exec, s[0:1]
	s_cbranch_execz .LBB5_43
; %bb.42:                               ;   in Loop: Header=BB5_3 Depth=1
	flat_load_dwordx2 v[18:19], v[8:9]
	v_add_u32_e32 v22, -8, v20
	v_lshl_add_u64 v[8:9], v[8:9], 0, 8
	s_waitcnt vmcnt(0) lgkmcnt(0)
	v_and_b32_e32 v20, 0xff, v19
	v_and_b32_e32 v21, 0xff00, v19
	;; [unrolled: 1-line block ×4, first 2 shown]
	v_or_b32_e32 v20, v20, v21
	v_or3_b32 v18, v18, 0, 0
	v_or3_b32 v19, v20, v23, v19
.LBB5_43:                               ;   in Loop: Header=BB5_3 Depth=1
	s_or_b64 exec, exec, s[0:1]
	v_cmp_gt_u32_e32 vcc, 8, v22
                                        ; implicit-def: $vgpr20_vgpr21
                                        ; implicit-def: $sgpr10
	s_and_saveexec_b64 s[0:1], vcc
	s_xor_b64 s[0:1], exec, s[0:1]
	s_cbranch_execz .LBB5_49
; %bb.44:                               ;   in Loop: Header=BB5_3 Depth=1
	v_cmp_ne_u32_e32 vcc, 0, v22
	v_mov_b64_e32 v[20:21], 0
	s_and_saveexec_b64 s[10:11], vcc
	s_cbranch_execz .LBB5_48
; %bb.45:                               ;   in Loop: Header=BB5_3 Depth=1
	s_mov_b64 s[12:13], 0
	v_mov_b64_e32 v[20:21], 0
	s_mov_b64 s[14:15], 0
	s_mov_b64 s[16:17], 0
.LBB5_46:                               ;   Parent Loop BB5_3 Depth=1
                                        ; =>  This Inner Loop Header: Depth=2
	v_lshl_add_u64 v[24:25], v[8:9], 0, s[16:17]
	flat_load_ubyte v23, v[24:25]
	s_add_u32 s16, s16, 1
	v_mov_b32_e32 v25, s18
	s_addc_u32 s17, s17, 0
	v_cmp_eq_u32_e32 vcc, s16, v22
	s_waitcnt vmcnt(0) lgkmcnt(0)
	v_and_b32_e32 v24, 0xffff, v23
	v_lshlrev_b64 v[24:25], s14, v[24:25]
	s_add_u32 s14, s14, 8
	s_addc_u32 s15, s15, 0
	v_or_b32_e32 v21, v25, v21
	s_or_b64 s[12:13], vcc, s[12:13]
	v_or_b32_e32 v20, v24, v20
	s_andn2_b64 exec, exec, s[12:13]
	s_cbranch_execnz .LBB5_46
; %bb.47:                               ;   in Loop: Header=BB5_3 Depth=1
	s_or_b64 exec, exec, s[12:13]
.LBB5_48:                               ;   in Loop: Header=BB5_3 Depth=1
	s_or_b64 exec, exec, s[10:11]
	s_mov_b32 s10, 0
                                        ; implicit-def: $vgpr22
.LBB5_49:                               ;   in Loop: Header=BB5_3 Depth=1
	s_or_saveexec_b64 s[0:1], s[0:1]
	v_mov_b32_e32 v24, s10
	s_xor_b64 exec, exec, s[0:1]
	s_cbranch_execz .LBB5_51
; %bb.50:                               ;   in Loop: Header=BB5_3 Depth=1
	flat_load_dwordx2 v[20:21], v[8:9]
	v_add_u32_e32 v24, -8, v22
	v_lshl_add_u64 v[8:9], v[8:9], 0, 8
	s_waitcnt vmcnt(0) lgkmcnt(0)
	v_and_b32_e32 v22, 0xff, v21
	v_and_b32_e32 v23, 0xff00, v21
	;; [unrolled: 1-line block ×4, first 2 shown]
	v_or_b32_e32 v22, v22, v23
	v_or3_b32 v20, v20, 0, 0
	v_or3_b32 v21, v22, v25, v21
.LBB5_51:                               ;   in Loop: Header=BB5_3 Depth=1
	s_or_b64 exec, exec, s[0:1]
	v_cmp_gt_u32_e32 vcc, 8, v24
	s_and_saveexec_b64 s[0:1], vcc
	s_xor_b64 s[0:1], exec, s[0:1]
	s_cbranch_execz .LBB5_57
; %bb.52:                               ;   in Loop: Header=BB5_3 Depth=1
	v_cmp_ne_u32_e32 vcc, 0, v24
	v_mov_b64_e32 v[22:23], 0
	s_and_saveexec_b64 s[10:11], vcc
	s_cbranch_execz .LBB5_56
; %bb.53:                               ;   in Loop: Header=BB5_3 Depth=1
	s_mov_b64 s[12:13], 0
	v_mov_b64_e32 v[22:23], 0
	s_mov_b64 s[14:15], 0
.LBB5_54:                               ;   Parent Loop BB5_3 Depth=1
                                        ; =>  This Inner Loop Header: Depth=2
	flat_load_ubyte v25, v[8:9]
	v_mov_b32_e32 v27, s18
	v_add_u32_e32 v24, -1, v24
	v_cmp_eq_u32_e32 vcc, 0, v24
	v_lshl_add_u64 v[8:9], v[8:9], 0, 1
	s_waitcnt vmcnt(0) lgkmcnt(0)
	v_and_b32_e32 v26, 0xffff, v25
	v_lshlrev_b64 v[26:27], s14, v[26:27]
	s_add_u32 s14, s14, 8
	s_addc_u32 s15, s15, 0
	v_or_b32_e32 v23, v27, v23
	s_or_b64 s[12:13], vcc, s[12:13]
	v_or_b32_e32 v22, v26, v22
	s_andn2_b64 exec, exec, s[12:13]
	s_cbranch_execnz .LBB5_54
; %bb.55:                               ;   in Loop: Header=BB5_3 Depth=1
	s_or_b64 exec, exec, s[12:13]
.LBB5_56:                               ;   in Loop: Header=BB5_3 Depth=1
	s_or_b64 exec, exec, s[10:11]
                                        ; implicit-def: $vgpr8_vgpr9
.LBB5_57:                               ;   in Loop: Header=BB5_3 Depth=1
	s_andn2_saveexec_b64 s[0:1], s[0:1]
	s_cbranch_execz .LBB5_59
; %bb.58:                               ;   in Loop: Header=BB5_3 Depth=1
	flat_load_dwordx2 v[8:9], v[8:9]
	s_waitcnt vmcnt(0) lgkmcnt(0)
	v_and_b32_e32 v22, 0xff, v9
	v_and_b32_e32 v23, 0xff00, v9
	;; [unrolled: 1-line block ×4, first 2 shown]
	v_or_b32_e32 v22, v22, v23
	v_or3_b32 v23, v22, v24, v9
	v_or3_b32 v22, v8, 0, 0
.LBB5_59:                               ;   in Loop: Header=BB5_3 Depth=1
	s_or_b64 exec, exec, s[0:1]
	v_readfirstlane_b32 s0, v32
	v_mov_b64_e32 v[8:9], 0
	s_nop 0
	v_cmp_eq_u32_e64 s[0:1], s0, v32
	s_and_saveexec_b64 s[10:11], s[0:1]
	s_cbranch_execz .LBB5_65
; %bb.60:                               ;   in Loop: Header=BB5_3 Depth=1
	s_waitcnt lgkmcnt(0)
	global_load_dwordx2 v[26:27], v31, s[6:7] offset:24 sc0 sc1
	s_waitcnt vmcnt(0)
	buffer_inv sc0 sc1
	global_load_dwordx2 v[8:9], v31, s[6:7] offset:40
	global_load_dwordx2 v[24:25], v31, s[6:7]
	s_waitcnt vmcnt(1)
	v_and_b32_e32 v8, v8, v26
	v_and_b32_e32 v9, v9, v27
	v_mul_lo_u32 v9, v9, 24
	v_mul_hi_u32 v29, v8, 24
	v_add_u32_e32 v9, v29, v9
	v_mul_lo_u32 v8, v8, 24
	s_waitcnt vmcnt(0)
	v_lshl_add_u64 v[8:9], v[24:25], 0, v[8:9]
	global_load_dwordx2 v[24:25], v[8:9], off sc0 sc1
	s_waitcnt vmcnt(0)
	global_atomic_cmpswap_x2 v[8:9], v31, v[24:27], s[6:7] offset:24 sc0 sc1
	s_waitcnt vmcnt(0)
	buffer_inv sc0 sc1
	v_cmp_ne_u64_e32 vcc, v[8:9], v[26:27]
	s_and_saveexec_b64 s[12:13], vcc
	s_cbranch_execz .LBB5_64
; %bb.61:                               ;   in Loop: Header=BB5_3 Depth=1
	s_mov_b64 s[14:15], 0
.LBB5_62:                               ;   Parent Loop BB5_3 Depth=1
                                        ; =>  This Inner Loop Header: Depth=2
	s_sleep 1
	global_load_dwordx2 v[24:25], v31, s[6:7] offset:40
	global_load_dwordx2 v[36:37], v31, s[6:7]
	v_mov_b64_e32 v[26:27], v[8:9]
	s_waitcnt vmcnt(1)
	v_and_b32_e32 v8, v24, v26
	s_waitcnt vmcnt(0)
	v_mad_u64_u32 v[8:9], s[16:17], v8, 24, v[36:37]
	v_and_b32_e32 v25, v25, v27
	v_mov_b32_e32 v24, v9
	v_mad_u64_u32 v[24:25], s[16:17], v25, 24, v[24:25]
	v_mov_b32_e32 v9, v24
	global_load_dwordx2 v[24:25], v[8:9], off sc0 sc1
	s_waitcnt vmcnt(0)
	global_atomic_cmpswap_x2 v[8:9], v31, v[24:27], s[6:7] offset:24 sc0 sc1
	s_waitcnt vmcnt(0)
	buffer_inv sc0 sc1
	v_cmp_eq_u64_e32 vcc, v[8:9], v[26:27]
	s_or_b64 s[14:15], vcc, s[14:15]
	s_andn2_b64 exec, exec, s[14:15]
	s_cbranch_execnz .LBB5_62
; %bb.63:                               ;   in Loop: Header=BB5_3 Depth=1
	s_or_b64 exec, exec, s[14:15]
.LBB5_64:                               ;   in Loop: Header=BB5_3 Depth=1
	s_or_b64 exec, exec, s[12:13]
.LBB5_65:                               ;   in Loop: Header=BB5_3 Depth=1
	s_or_b64 exec, exec, s[10:11]
	s_waitcnt lgkmcnt(0)
	global_load_dwordx2 v[36:37], v31, s[6:7] offset:40
	global_load_dwordx4 v[24:27], v31, s[6:7]
	v_readfirstlane_b32 s10, v8
	v_readfirstlane_b32 s11, v9
	s_mov_b64 s[12:13], exec
	s_waitcnt vmcnt(1)
	v_readfirstlane_b32 s14, v36
	v_readfirstlane_b32 s15, v37
	s_and_b64 s[14:15], s[10:11], s[14:15]
	s_mul_i32 s16, s15, 24
	s_mul_hi_u32 s17, s14, 24
	s_add_i32 s17, s17, s16
	s_mul_i32 s16, s14, 24
	s_waitcnt vmcnt(0)
	v_lshl_add_u64 v[36:37], v[24:25], 0, s[16:17]
	s_and_saveexec_b64 s[16:17], s[0:1]
	s_cbranch_execz .LBB5_67
; %bb.66:                               ;   in Loop: Header=BB5_3 Depth=1
	v_mov_b64_e32 v[8:9], s[12:13]
	global_store_dwordx4 v[36:37], v[8:11], off offset:8
.LBB5_67:                               ;   in Loop: Header=BB5_3 Depth=1
	s_or_b64 exec, exec, s[16:17]
	s_lshl_b64 s[12:13], s[14:15], 12
	v_lshl_add_u64 v[8:9], v[26:27], 0, s[12:13]
	v_or_b32_e32 v26, 0, v1
	v_cmp_lt_u64_e32 vcc, 56, v[4:5]
	v_or_b32_e32 v27, v0, v28
	v_lshlrev_b32_e32 v30, 6, v32
	v_cndmask_b32_e32 v1, v26, v1, vcc
	v_lshl_add_u32 v26, v34, 2, 28
	v_cndmask_b32_e32 v0, v27, v0, vcc
	v_and_b32_e32 v26, 0x1e0, v26
	v_and_or_b32 v0, v0, s19, v26
	v_readfirstlane_b32 s12, v8
	v_readfirstlane_b32 s13, v9
	s_nop 4
	global_store_dwordx4 v30, v[0:3], s[12:13]
	global_store_dwordx4 v30, v[12:15], s[12:13] offset:16
	global_store_dwordx4 v30, v[16:19], s[12:13] offset:32
	global_store_dwordx4 v30, v[20:23], s[12:13] offset:48
	s_and_saveexec_b64 s[12:13], s[0:1]
	s_cbranch_execz .LBB5_75
; %bb.68:                               ;   in Loop: Header=BB5_3 Depth=1
	global_load_dwordx2 v[16:17], v31, s[6:7] offset:32 sc0 sc1
	global_load_dwordx2 v[0:1], v31, s[6:7] offset:40
	v_mov_b32_e32 v14, s10
	v_mov_b32_e32 v15, s11
	s_waitcnt vmcnt(0)
	v_readfirstlane_b32 s14, v0
	v_readfirstlane_b32 s15, v1
	s_and_b64 s[14:15], s[14:15], s[10:11]
	s_mul_i32 s15, s15, 24
	s_mul_hi_u32 s16, s14, 24
	s_mul_i32 s14, s14, 24
	s_add_i32 s15, s16, s15
	v_lshl_add_u64 v[12:13], v[24:25], 0, s[14:15]
	global_store_dwordx2 v[12:13], v[16:17], off
	buffer_wbl2 sc0 sc1
	s_waitcnt vmcnt(0)
	global_atomic_cmpswap_x2 v[2:3], v31, v[14:17], s[6:7] offset:32 sc0 sc1
	s_waitcnt vmcnt(0)
	v_cmp_ne_u64_e32 vcc, v[2:3], v[16:17]
	s_and_saveexec_b64 s[14:15], vcc
	s_cbranch_execz .LBB5_71
; %bb.69:                               ;   in Loop: Header=BB5_3 Depth=1
	s_mov_b64 s[16:17], 0
.LBB5_70:                               ;   Parent Loop BB5_3 Depth=1
                                        ; =>  This Inner Loop Header: Depth=2
	s_sleep 1
	global_store_dwordx2 v[12:13], v[2:3], off
	v_mov_b32_e32 v0, s10
	v_mov_b32_e32 v1, s11
	buffer_wbl2 sc0 sc1
	s_waitcnt vmcnt(0)
	global_atomic_cmpswap_x2 v[0:1], v31, v[0:3], s[6:7] offset:32 sc0 sc1
	s_waitcnt vmcnt(0)
	v_cmp_eq_u64_e32 vcc, v[0:1], v[2:3]
	s_or_b64 s[16:17], vcc, s[16:17]
	v_mov_b64_e32 v[2:3], v[0:1]
	s_andn2_b64 exec, exec, s[16:17]
	s_cbranch_execnz .LBB5_70
.LBB5_71:                               ;   in Loop: Header=BB5_3 Depth=1
	s_or_b64 exec, exec, s[14:15]
	global_load_dwordx2 v[0:1], v31, s[6:7] offset:16
	s_mov_b64 s[16:17], exec
	v_mbcnt_lo_u32_b32 v2, s16, 0
	v_mbcnt_hi_u32_b32 v2, s17, v2
	v_cmp_eq_u32_e32 vcc, 0, v2
	s_and_saveexec_b64 s[14:15], vcc
	s_cbranch_execz .LBB5_73
; %bb.72:                               ;   in Loop: Header=BB5_3 Depth=1
	s_bcnt1_i32_b64 s16, s[16:17]
	v_mov_b32_e32 v2, s16
	v_mov_b32_e32 v3, v31
	buffer_wbl2 sc0 sc1
	s_waitcnt vmcnt(0)
	global_atomic_add_x2 v[0:1], v[2:3], off offset:8 sc1
.LBB5_73:                               ;   in Loop: Header=BB5_3 Depth=1
	s_or_b64 exec, exec, s[14:15]
	s_waitcnt vmcnt(0)
	global_load_dwordx2 v[2:3], v[0:1], off offset:16
	s_waitcnt vmcnt(0)
	v_cmp_eq_u64_e32 vcc, 0, v[2:3]
	s_cbranch_vccnz .LBB5_75
; %bb.74:                               ;   in Loop: Header=BB5_3 Depth=1
	global_load_dword v0, v[0:1], off offset:24
	v_mov_b32_e32 v1, v31
	buffer_wbl2 sc0 sc1
	s_waitcnt vmcnt(0)
	global_store_dwordx2 v[2:3], v[0:1], off sc0 sc1
	v_and_b32_e32 v0, 0xffffff, v0
	s_nop 0
	v_readfirstlane_b32 m0, v0
	s_sendmsg sendmsg(MSG_INTERRUPT)
.LBB5_75:                               ;   in Loop: Header=BB5_3 Depth=1
	s_or_b64 exec, exec, s[12:13]
	v_lshl_add_u64 v[0:1], v[8:9], 0, v[30:31]
	s_branch .LBB5_79
.LBB5_76:                               ;   in Loop: Header=BB5_79 Depth=2
	s_or_b64 exec, exec, s[12:13]
	v_readfirstlane_b32 s12, v2
	s_cmp_eq_u32 s12, 0
	s_cbranch_scc1 .LBB5_78
; %bb.77:                               ;   in Loop: Header=BB5_79 Depth=2
	s_sleep 1
	s_cbranch_execnz .LBB5_79
	s_branch .LBB5_81
.LBB5_78:                               ;   in Loop: Header=BB5_3 Depth=1
	s_branch .LBB5_81
.LBB5_79:                               ;   Parent Loop BB5_3 Depth=1
                                        ; =>  This Inner Loop Header: Depth=2
	v_mov_b32_e32 v2, 1
	s_and_saveexec_b64 s[12:13], s[0:1]
	s_cbranch_execz .LBB5_76
; %bb.80:                               ;   in Loop: Header=BB5_79 Depth=2
	global_load_dword v2, v[36:37], off offset:20 sc0 sc1
	s_waitcnt vmcnt(0)
	buffer_inv sc0 sc1
	v_and_b32_e32 v2, 1, v2
	s_branch .LBB5_76
.LBB5_81:                               ;   in Loop: Header=BB5_3 Depth=1
	global_load_dwordx4 v[0:3], v[0:1], off
	s_and_saveexec_b64 s[12:13], s[0:1]
	s_cbranch_execz .LBB5_2
; %bb.82:                               ;   in Loop: Header=BB5_3 Depth=1
	global_load_dwordx2 v[2:3], v31, s[6:7] offset:40
	global_load_dwordx2 v[8:9], v31, s[6:7] offset:24 sc0 sc1
	global_load_dwordx2 v[16:17], v31, s[6:7]
	s_waitcnt vmcnt(2)
	v_lshl_add_u64 v[12:13], v[2:3], 0, 1
	v_lshl_add_u64 v[18:19], v[12:13], 0, s[10:11]
	v_cmp_eq_u64_e32 vcc, 0, v[18:19]
	s_waitcnt vmcnt(1)
	v_mov_b32_e32 v14, v8
	v_cndmask_b32_e32 v13, v19, v13, vcc
	v_cndmask_b32_e32 v12, v18, v12, vcc
	v_and_b32_e32 v3, v13, v3
	v_and_b32_e32 v2, v12, v2
	v_mul_lo_u32 v3, v3, 24
	v_mul_hi_u32 v15, v2, 24
	v_mul_lo_u32 v2, v2, 24
	v_add_u32_e32 v3, v15, v3
	s_waitcnt vmcnt(0)
	v_lshl_add_u64 v[2:3], v[16:17], 0, v[2:3]
	global_store_dwordx2 v[2:3], v[8:9], off
	v_mov_b32_e32 v15, v9
	buffer_wbl2 sc0 sc1
	s_waitcnt vmcnt(0)
	global_atomic_cmpswap_x2 v[14:15], v31, v[12:15], s[6:7] offset:24 sc0 sc1
	s_waitcnt vmcnt(0)
	v_cmp_ne_u64_e32 vcc, v[14:15], v[8:9]
	s_and_b64 exec, exec, vcc
	s_cbranch_execz .LBB5_2
; %bb.83:                               ;   in Loop: Header=BB5_3 Depth=1
	s_mov_b64 s[0:1], 0
.LBB5_84:                               ;   Parent Loop BB5_3 Depth=1
                                        ; =>  This Inner Loop Header: Depth=2
	s_sleep 1
	global_store_dwordx2 v[2:3], v[14:15], off
	buffer_wbl2 sc0 sc1
	s_waitcnt vmcnt(0)
	global_atomic_cmpswap_x2 v[8:9], v31, v[12:15], s[6:7] offset:24 sc0 sc1
	s_waitcnt vmcnt(0)
	v_cmp_eq_u64_e32 vcc, v[8:9], v[14:15]
	s_or_b64 s[0:1], vcc, s[0:1]
	v_mov_b64_e32 v[14:15], v[8:9]
	s_andn2_b64 exec, exec, s[0:1]
	s_cbranch_execnz .LBB5_84
	s_branch .LBB5_2
.LBB5_85:
	s_or_b64 exec, exec, s[2:3]
                                        ; implicit-def: $vgpr2
                                        ; implicit-def: $vgpr3
.LBB5_86:
	s_andn2_saveexec_b64 s[2:3], s[4:5]
	s_cbranch_execz .LBB5_109
; %bb.87:
	s_load_dwordx2 s[4:5], s[8:9], 0x50
	s_waitcnt vmcnt(0)
	v_mbcnt_hi_u32_b32 v3, -1, v3
	v_mov_b64_e32 v[8:9], 0
	v_readfirstlane_b32 s0, v3
	s_nop 1
	v_cmp_eq_u32_e64 s[0:1], s0, v3
	s_and_saveexec_b64 s[6:7], s[0:1]
	s_cbranch_execz .LBB5_93
; %bb.88:
	v_mov_b32_e32 v0, 0
	s_waitcnt lgkmcnt(0)
	global_load_dwordx2 v[6:7], v0, s[4:5] offset:24 sc0 sc1
	s_waitcnt vmcnt(0)
	buffer_inv sc0 sc1
	global_load_dwordx2 v[4:5], v0, s[4:5] offset:40
	global_load_dwordx2 v[8:9], v0, s[4:5]
	s_waitcnt vmcnt(1)
	v_and_b32_e32 v4, v4, v6
	v_and_b32_e32 v5, v5, v7
	v_mul_lo_u32 v5, v5, 24
	v_mul_hi_u32 v10, v4, 24
	v_add_u32_e32 v5, v10, v5
	v_mul_lo_u32 v4, v4, 24
	s_waitcnt vmcnt(0)
	v_lshl_add_u64 v[4:5], v[8:9], 0, v[4:5]
	global_load_dwordx2 v[4:5], v[4:5], off sc0 sc1
	s_waitcnt vmcnt(0)
	global_atomic_cmpswap_x2 v[8:9], v0, v[4:7], s[4:5] offset:24 sc0 sc1
	s_waitcnt vmcnt(0)
	buffer_inv sc0 sc1
	v_cmp_ne_u64_e32 vcc, v[8:9], v[6:7]
	s_and_saveexec_b64 s[8:9], vcc
	s_cbranch_execz .LBB5_92
; %bb.89:
	s_mov_b64 s[10:11], 0
.LBB5_90:                               ; =>This Inner Loop Header: Depth=1
	s_sleep 1
	global_load_dwordx2 v[4:5], v0, s[4:5] offset:40
	global_load_dwordx2 v[10:11], v0, s[4:5]
	v_mov_b64_e32 v[6:7], v[8:9]
	s_waitcnt vmcnt(1)
	v_and_b32_e32 v4, v4, v6
	v_and_b32_e32 v9, v5, v7
	s_waitcnt vmcnt(0)
	v_mad_u64_u32 v[4:5], s[12:13], v4, 24, v[10:11]
	v_mov_b32_e32 v8, v5
	v_mad_u64_u32 v[8:9], s[12:13], v9, 24, v[8:9]
	v_mov_b32_e32 v5, v8
	global_load_dwordx2 v[4:5], v[4:5], off sc0 sc1
	s_waitcnt vmcnt(0)
	global_atomic_cmpswap_x2 v[8:9], v0, v[4:7], s[4:5] offset:24 sc0 sc1
	s_waitcnt vmcnt(0)
	buffer_inv sc0 sc1
	v_cmp_eq_u64_e32 vcc, v[8:9], v[6:7]
	s_or_b64 s[10:11], vcc, s[10:11]
	s_andn2_b64 exec, exec, s[10:11]
	s_cbranch_execnz .LBB5_90
; %bb.91:
	s_or_b64 exec, exec, s[10:11]
.LBB5_92:
	s_or_b64 exec, exec, s[8:9]
.LBB5_93:
	s_or_b64 exec, exec, s[6:7]
	v_mov_b32_e32 v11, 0
	s_waitcnt lgkmcnt(0)
	global_load_dwordx2 v[12:13], v11, s[4:5] offset:40
	global_load_dwordx4 v[4:7], v11, s[4:5]
	v_readfirstlane_b32 s6, v8
	v_readfirstlane_b32 s7, v9
	s_mov_b64 s[8:9], exec
	s_waitcnt vmcnt(1)
	v_readfirstlane_b32 s10, v12
	v_readfirstlane_b32 s11, v13
	s_and_b64 s[10:11], s[6:7], s[10:11]
	s_mul_i32 s12, s11, 24
	s_mul_hi_u32 s13, s10, 24
	s_add_i32 s13, s13, s12
	s_mul_i32 s12, s10, 24
	s_waitcnt vmcnt(0)
	v_lshl_add_u64 v[8:9], v[4:5], 0, s[12:13]
	s_and_saveexec_b64 s[12:13], s[0:1]
	s_cbranch_execz .LBB5_95
; %bb.94:
	v_mov_b64_e32 v[12:13], s[8:9]
	v_mov_b32_e32 v14, 2
	v_mov_b32_e32 v15, 1
	global_store_dwordx4 v[8:9], v[12:15], off offset:8
.LBB5_95:
	s_or_b64 exec, exec, s[12:13]
	s_lshl_b64 s[8:9], s[10:11], 12
	v_lshl_add_u64 v[6:7], v[6:7], 0, s[8:9]
	s_movk_i32 s8, 0xff1f
	v_and_or_b32 v0, v2, s8, 32
	s_mov_b32 s8, 0
	v_lshlrev_b32_e32 v10, 6, v3
	v_mov_b32_e32 v2, v11
	v_mov_b32_e32 v3, v11
	v_readfirstlane_b32 s12, v6
	v_readfirstlane_b32 s13, v7
	s_mov_b32 s9, s8
	s_mov_b32 s10, s8
	;; [unrolled: 1-line block ×3, first 2 shown]
	s_nop 1
	global_store_dwordx4 v10, v[0:3], s[12:13]
	s_nop 1
	v_mov_b64_e32 v[0:1], s[8:9]
	v_mov_b64_e32 v[2:3], s[10:11]
	global_store_dwordx4 v10, v[0:3], s[12:13] offset:16
	global_store_dwordx4 v10, v[0:3], s[12:13] offset:32
	;; [unrolled: 1-line block ×3, first 2 shown]
	s_and_saveexec_b64 s[8:9], s[0:1]
	s_cbranch_execz .LBB5_103
; %bb.96:
	v_mov_b32_e32 v12, 0
	global_load_dwordx2 v[16:17], v12, s[4:5] offset:32 sc0 sc1
	global_load_dwordx2 v[0:1], v12, s[4:5] offset:40
	v_mov_b32_e32 v14, s6
	v_mov_b32_e32 v15, s7
	s_waitcnt vmcnt(0)
	v_and_b32_e32 v0, s6, v0
	v_and_b32_e32 v1, s7, v1
	v_mul_lo_u32 v1, v1, 24
	v_mul_hi_u32 v2, v0, 24
	v_mul_lo_u32 v0, v0, 24
	v_add_u32_e32 v1, v2, v1
	v_lshl_add_u64 v[4:5], v[4:5], 0, v[0:1]
	global_store_dwordx2 v[4:5], v[16:17], off
	buffer_wbl2 sc0 sc1
	s_waitcnt vmcnt(0)
	global_atomic_cmpswap_x2 v[2:3], v12, v[14:17], s[4:5] offset:32 sc0 sc1
	s_waitcnt vmcnt(0)
	v_cmp_ne_u64_e32 vcc, v[2:3], v[16:17]
	s_and_saveexec_b64 s[10:11], vcc
	s_cbranch_execz .LBB5_99
; %bb.97:
	s_mov_b64 s[12:13], 0
.LBB5_98:                               ; =>This Inner Loop Header: Depth=1
	s_sleep 1
	global_store_dwordx2 v[4:5], v[2:3], off
	v_mov_b32_e32 v0, s6
	v_mov_b32_e32 v1, s7
	buffer_wbl2 sc0 sc1
	s_waitcnt vmcnt(0)
	global_atomic_cmpswap_x2 v[0:1], v12, v[0:3], s[4:5] offset:32 sc0 sc1
	s_waitcnt vmcnt(0)
	v_cmp_eq_u64_e32 vcc, v[0:1], v[2:3]
	s_or_b64 s[12:13], vcc, s[12:13]
	v_mov_b64_e32 v[2:3], v[0:1]
	s_andn2_b64 exec, exec, s[12:13]
	s_cbranch_execnz .LBB5_98
.LBB5_99:
	s_or_b64 exec, exec, s[10:11]
	v_mov_b32_e32 v3, 0
	global_load_dwordx2 v[0:1], v3, s[4:5] offset:16
	s_mov_b64 s[10:11], exec
	v_mbcnt_lo_u32_b32 v2, s10, 0
	v_mbcnt_hi_u32_b32 v2, s11, v2
	v_cmp_eq_u32_e32 vcc, 0, v2
	s_and_saveexec_b64 s[12:13], vcc
	s_cbranch_execz .LBB5_101
; %bb.100:
	s_bcnt1_i32_b64 s10, s[10:11]
	v_mov_b32_e32 v2, s10
	buffer_wbl2 sc0 sc1
	s_waitcnt vmcnt(0)
	global_atomic_add_x2 v[0:1], v[2:3], off offset:8 sc1
.LBB5_101:
	s_or_b64 exec, exec, s[12:13]
	s_waitcnt vmcnt(0)
	global_load_dwordx2 v[2:3], v[0:1], off offset:16
	s_waitcnt vmcnt(0)
	v_cmp_eq_u64_e32 vcc, 0, v[2:3]
	s_cbranch_vccnz .LBB5_103
; %bb.102:
	global_load_dword v0, v[0:1], off offset:24
	v_mov_b32_e32 v1, 0
	buffer_wbl2 sc0 sc1
	s_waitcnt vmcnt(0)
	global_store_dwordx2 v[2:3], v[0:1], off sc0 sc1
	v_and_b32_e32 v0, 0xffffff, v0
	s_nop 0
	v_readfirstlane_b32 m0, v0
	s_sendmsg sendmsg(MSG_INTERRUPT)
.LBB5_103:
	s_or_b64 exec, exec, s[8:9]
	v_lshl_add_u64 v[0:1], v[6:7], 0, v[10:11]
	s_branch .LBB5_107
.LBB5_104:                              ;   in Loop: Header=BB5_107 Depth=1
	s_or_b64 exec, exec, s[8:9]
	v_readfirstlane_b32 s8, v2
	s_cmp_eq_u32 s8, 0
	s_cbranch_scc1 .LBB5_106
; %bb.105:                              ;   in Loop: Header=BB5_107 Depth=1
	s_sleep 1
	s_cbranch_execnz .LBB5_107
	s_branch .LBB5_110
.LBB5_106:
	s_branch .LBB5_110
.LBB5_107:                              ; =>This Inner Loop Header: Depth=1
	v_mov_b32_e32 v2, 1
	s_and_saveexec_b64 s[8:9], s[0:1]
	s_cbranch_execz .LBB5_104
; %bb.108:                              ;   in Loop: Header=BB5_107 Depth=1
	global_load_dword v2, v[8:9], off offset:20 sc0 sc1
	s_waitcnt vmcnt(0)
	buffer_inv sc0 sc1
	v_and_b32_e32 v2, 1, v2
	s_branch .LBB5_104
.LBB5_109:
	s_or_b64 exec, exec, s[2:3]
	s_waitcnt vmcnt(0) lgkmcnt(0)
	s_setpc_b64 s[30:31]
.LBB5_110:
	global_load_dwordx2 v[0:1], v[0:1], off
	s_and_saveexec_b64 s[8:9], s[0:1]
	s_cbranch_execz .LBB5_113
; %bb.111:
	v_mov_b32_e32 v8, 0
	global_load_dwordx2 v[6:7], v8, s[4:5] offset:40
	global_load_dwordx2 v[10:11], v8, s[4:5] offset:24 sc0 sc1
	global_load_dwordx2 v[12:13], v8, s[4:5]
	s_mov_b64 s[0:1], 0
	s_waitcnt vmcnt(2)
	v_lshl_add_u64 v[2:3], v[6:7], 0, 1
	v_lshl_add_u64 v[14:15], v[2:3], 0, s[6:7]
	v_cmp_eq_u64_e32 vcc, 0, v[14:15]
	s_waitcnt vmcnt(1)
	v_mov_b32_e32 v4, v10
	v_cndmask_b32_e32 v3, v15, v3, vcc
	v_cndmask_b32_e32 v2, v14, v2, vcc
	v_and_b32_e32 v5, v3, v7
	v_and_b32_e32 v6, v2, v6
	v_mul_lo_u32 v5, v5, 24
	v_mul_hi_u32 v7, v6, 24
	v_mul_lo_u32 v6, v6, 24
	v_add_u32_e32 v7, v7, v5
	s_waitcnt vmcnt(0)
	v_lshl_add_u64 v[6:7], v[12:13], 0, v[6:7]
	global_store_dwordx2 v[6:7], v[10:11], off
	v_mov_b32_e32 v5, v11
	buffer_wbl2 sc0 sc1
	s_waitcnt vmcnt(0)
	global_atomic_cmpswap_x2 v[4:5], v8, v[2:5], s[4:5] offset:24 sc0 sc1
	s_waitcnt vmcnt(0)
	v_cmp_ne_u64_e32 vcc, v[4:5], v[10:11]
	s_and_b64 exec, exec, vcc
	s_cbranch_execz .LBB5_113
.LBB5_112:                              ; =>This Inner Loop Header: Depth=1
	s_sleep 1
	global_store_dwordx2 v[6:7], v[4:5], off
	buffer_wbl2 sc0 sc1
	s_waitcnt vmcnt(0)
	global_atomic_cmpswap_x2 v[10:11], v8, v[2:5], s[4:5] offset:24 sc0 sc1
	s_waitcnt vmcnt(0)
	v_cmp_eq_u64_e32 vcc, v[10:11], v[4:5]
	s_or_b64 s[0:1], vcc, s[0:1]
	v_mov_b64_e32 v[4:5], v[10:11]
	s_andn2_b64 exec, exec, s[0:1]
	s_cbranch_execnz .LBB5_112
.LBB5_113:
	s_or_b64 exec, exec, s[8:9]
	s_or_b64 exec, exec, s[2:3]
	s_waitcnt vmcnt(0) lgkmcnt(0)
	s_setpc_b64 s[30:31]
.Lfunc_end5:
	.size	__ockl_printf_append_string_n, .Lfunc_end5-__ockl_printf_append_string_n
                                        ; -- End function
	.section	.AMDGPU.csdata,"",@progbits
; Function info:
; codeLenInByte = 4200
; NumSgprs: 38
; NumVgprs: 38
; NumAgprs: 0
; TotalNumVgprs: 38
; ScratchSize: 0
; MemoryBound: 0
	.text
	.p2align	2                               ; -- Begin function __ockl_printf_append_args
	.type	__ockl_printf_append_args,@function
__ockl_printf_append_args:              ; @__ockl_printf_append_args
; %bb.0:
	s_waitcnt vmcnt(0) expcnt(0) lgkmcnt(0)
	s_load_dwordx2 s[2:3], s[8:9], 0x50
	v_mbcnt_lo_u32_b32 v5, -1, 0
	v_mbcnt_hi_u32_b32 v5, -1, v5
	v_mov_b64_e32 v[10:11], 0
	v_readfirstlane_b32 s0, v5
	s_nop 1
	v_cmp_eq_u32_e64 s[0:1], s0, v5
	s_and_saveexec_b64 s[4:5], s[0:1]
	s_cbranch_execz .LBB6_6
; %bb.1:
	v_mov_b32_e32 v6, 0
	s_waitcnt lgkmcnt(0)
	global_load_dwordx2 v[12:13], v6, s[2:3] offset:24 sc0 sc1
	s_waitcnt vmcnt(0)
	buffer_inv sc0 sc1
	global_load_dwordx2 v[8:9], v6, s[2:3] offset:40
	global_load_dwordx2 v[10:11], v6, s[2:3]
	s_waitcnt vmcnt(1)
	v_and_b32_e32 v7, v8, v12
	v_and_b32_e32 v8, v9, v13
	v_mul_lo_u32 v8, v8, 24
	v_mul_hi_u32 v9, v7, 24
	v_add_u32_e32 v9, v9, v8
	v_mul_lo_u32 v8, v7, 24
	s_waitcnt vmcnt(0)
	v_lshl_add_u64 v[8:9], v[10:11], 0, v[8:9]
	global_load_dwordx2 v[10:11], v[8:9], off sc0 sc1
	s_waitcnt vmcnt(0)
	global_atomic_cmpswap_x2 v[10:11], v6, v[10:13], s[2:3] offset:24 sc0 sc1
	s_waitcnt vmcnt(0)
	buffer_inv sc0 sc1
	v_cmp_ne_u64_e32 vcc, v[10:11], v[12:13]
	s_and_saveexec_b64 s[6:7], vcc
	s_cbranch_execz .LBB6_5
; %bb.2:
	s_mov_b64 s[8:9], 0
.LBB6_3:                                ; =>This Inner Loop Header: Depth=1
	s_sleep 1
	global_load_dwordx2 v[8:9], v6, s[2:3] offset:40
	global_load_dwordx2 v[14:15], v6, s[2:3]
	v_mov_b64_e32 v[12:13], v[10:11]
	s_waitcnt vmcnt(1)
	v_and_b32_e32 v8, v8, v12
	v_and_b32_e32 v7, v9, v13
	s_waitcnt vmcnt(0)
	v_mad_u64_u32 v[8:9], s[10:11], v8, 24, v[14:15]
	v_mov_b32_e32 v10, v9
	v_mad_u64_u32 v[10:11], s[10:11], v7, 24, v[10:11]
	v_mov_b32_e32 v9, v10
	global_load_dwordx2 v[10:11], v[8:9], off sc0 sc1
	s_waitcnt vmcnt(0)
	global_atomic_cmpswap_x2 v[10:11], v6, v[10:13], s[2:3] offset:24 sc0 sc1
	s_waitcnt vmcnt(0)
	buffer_inv sc0 sc1
	v_cmp_eq_u64_e32 vcc, v[10:11], v[12:13]
	s_or_b64 s[8:9], vcc, s[8:9]
	s_andn2_b64 exec, exec, s[8:9]
	s_cbranch_execnz .LBB6_3
; %bb.4:
	s_or_b64 exec, exec, s[8:9]
.LBB6_5:
	s_or_b64 exec, exec, s[6:7]
.LBB6_6:
	s_or_b64 exec, exec, s[4:5]
	v_mov_b32_e32 v14, 0
	s_waitcnt lgkmcnt(0)
	global_load_dwordx2 v[12:13], v14, s[2:3] offset:40
	global_load_dwordx4 v[6:9], v14, s[2:3]
	v_readfirstlane_b32 s4, v10
	v_readfirstlane_b32 s5, v11
	s_mov_b64 s[6:7], exec
	s_waitcnt vmcnt(1)
	v_readfirstlane_b32 s8, v12
	v_readfirstlane_b32 s9, v13
	s_and_b64 s[8:9], s[4:5], s[8:9]
	s_mul_i32 s10, s9, 24
	s_mul_hi_u32 s11, s8, 24
	s_add_i32 s11, s11, s10
	s_mul_i32 s10, s8, 24
	s_waitcnt vmcnt(0)
	v_lshl_add_u64 v[10:11], v[6:7], 0, s[10:11]
	s_and_saveexec_b64 s[10:11], s[0:1]
	s_cbranch_execz .LBB6_8
; %bb.7:
	v_mov_b64_e32 v[12:13], s[6:7]
	v_mov_b32_e32 v14, 2
	v_mov_b32_e32 v15, 1
	global_store_dwordx4 v[10:11], v[12:15], off offset:8
.LBB6_8:
	s_or_b64 exec, exec, s[10:11]
	s_lshl_b64 s[6:7], s[8:9], 12
	v_or_b32_e32 v12, 2, v0
	v_cmp_eq_u32_e32 vcc, 0, v4
	v_lshl_add_u64 v[8:9], v[8:9], 0, s[6:7]
	s_mov_b32 s8, 0
	v_cndmask_b32_e32 v0, v12, v0, vcc
	s_movk_i32 s6, 0xff1f
	v_and_or_b32 v0, v0, s6, 32
	v_lshlrev_b32_e32 v4, 6, v5
	v_readfirstlane_b32 s6, v8
	v_readfirstlane_b32 s7, v9
	s_mov_b32 s9, s8
	s_mov_b32 s10, s8
	;; [unrolled: 1-line block ×3, first 2 shown]
	s_nop 1
	global_store_dwordx4 v4, v[0:3], s[6:7]
	s_nop 1
	v_mov_b64_e32 v[0:1], s[8:9]
	v_mov_b64_e32 v[2:3], s[10:11]
	global_store_dwordx4 v4, v[0:3], s[6:7] offset:16
	global_store_dwordx4 v4, v[0:3], s[6:7] offset:32
	;; [unrolled: 1-line block ×3, first 2 shown]
	s_and_saveexec_b64 s[6:7], s[0:1]
	s_cbranch_execz .LBB6_16
; %bb.9:
	v_mov_b32_e32 v8, 0
	global_load_dwordx2 v[14:15], v8, s[2:3] offset:32 sc0 sc1
	global_load_dwordx2 v[0:1], v8, s[2:3] offset:40
	v_mov_b32_e32 v12, s4
	v_mov_b32_e32 v13, s5
	s_waitcnt vmcnt(0)
	v_and_b32_e32 v0, s4, v0
	v_and_b32_e32 v1, s5, v1
	v_mul_lo_u32 v1, v1, 24
	v_mul_hi_u32 v2, v0, 24
	v_mul_lo_u32 v0, v0, 24
	v_add_u32_e32 v1, v2, v1
	v_lshl_add_u64 v[4:5], v[6:7], 0, v[0:1]
	global_store_dwordx2 v[4:5], v[14:15], off
	buffer_wbl2 sc0 sc1
	s_waitcnt vmcnt(0)
	global_atomic_cmpswap_x2 v[2:3], v8, v[12:15], s[2:3] offset:32 sc0 sc1
	s_waitcnt vmcnt(0)
	v_cmp_ne_u64_e32 vcc, v[2:3], v[14:15]
	s_and_saveexec_b64 s[8:9], vcc
	s_cbranch_execz .LBB6_12
; %bb.10:
	s_mov_b64 s[10:11], 0
.LBB6_11:                               ; =>This Inner Loop Header: Depth=1
	s_sleep 1
	global_store_dwordx2 v[4:5], v[2:3], off
	v_mov_b32_e32 v0, s4
	v_mov_b32_e32 v1, s5
	buffer_wbl2 sc0 sc1
	s_waitcnt vmcnt(0)
	global_atomic_cmpswap_x2 v[0:1], v8, v[0:3], s[2:3] offset:32 sc0 sc1
	s_waitcnt vmcnt(0)
	v_cmp_eq_u64_e32 vcc, v[0:1], v[2:3]
	s_or_b64 s[10:11], vcc, s[10:11]
	v_mov_b64_e32 v[2:3], v[0:1]
	s_andn2_b64 exec, exec, s[10:11]
	s_cbranch_execnz .LBB6_11
.LBB6_12:
	s_or_b64 exec, exec, s[8:9]
	v_mov_b32_e32 v3, 0
	global_load_dwordx2 v[0:1], v3, s[2:3] offset:16
	s_mov_b64 s[8:9], exec
	v_mbcnt_lo_u32_b32 v2, s8, 0
	v_mbcnt_hi_u32_b32 v2, s9, v2
	v_cmp_eq_u32_e32 vcc, 0, v2
	s_and_saveexec_b64 s[10:11], vcc
	s_cbranch_execz .LBB6_14
; %bb.13:
	s_bcnt1_i32_b64 s8, s[8:9]
	v_mov_b32_e32 v2, s8
	buffer_wbl2 sc0 sc1
	s_waitcnt vmcnt(0)
	global_atomic_add_x2 v[0:1], v[2:3], off offset:8 sc1
.LBB6_14:
	s_or_b64 exec, exec, s[10:11]
	s_waitcnt vmcnt(0)
	global_load_dwordx2 v[2:3], v[0:1], off offset:16
	s_waitcnt vmcnt(0)
	v_cmp_eq_u64_e32 vcc, 0, v[2:3]
	s_cbranch_vccnz .LBB6_16
; %bb.15:
	global_load_dword v0, v[0:1], off offset:24
	v_mov_b32_e32 v1, 0
	buffer_wbl2 sc0 sc1
	s_waitcnt vmcnt(0)
	global_store_dwordx2 v[2:3], v[0:1], off sc0 sc1
	v_and_b32_e32 v0, 0xffffff, v0
	s_nop 0
	v_readfirstlane_b32 m0, v0
	s_sendmsg sendmsg(MSG_INTERRUPT)
.LBB6_16:
	s_or_b64 exec, exec, s[6:7]
	s_branch .LBB6_20
.LBB6_17:                               ;   in Loop: Header=BB6_20 Depth=1
	s_or_b64 exec, exec, s[6:7]
	v_readfirstlane_b32 s6, v0
	s_cmp_eq_u32 s6, 0
	s_cbranch_scc1 .LBB6_19
; %bb.18:                               ;   in Loop: Header=BB6_20 Depth=1
	s_sleep 1
	s_cbranch_execnz .LBB6_20
	s_branch .LBB6_22
.LBB6_19:
	s_branch .LBB6_22
.LBB6_20:                               ; =>This Inner Loop Header: Depth=1
	v_mov_b32_e32 v0, 1
	s_and_saveexec_b64 s[6:7], s[0:1]
	s_cbranch_execz .LBB6_17
; %bb.21:                               ;   in Loop: Header=BB6_20 Depth=1
	global_load_dword v0, v[10:11], off offset:20 sc0 sc1
	s_waitcnt vmcnt(0)
	buffer_inv sc0 sc1
	v_and_b32_e32 v0, 1, v0
	s_branch .LBB6_17
.LBB6_22:
	s_and_saveexec_b64 s[6:7], s[0:1]
	s_cbranch_execz .LBB6_25
; %bb.23:
	v_mov_b32_e32 v6, 0
	global_load_dwordx2 v[4:5], v6, s[2:3] offset:40
	global_load_dwordx2 v[8:9], v6, s[2:3] offset:24 sc0 sc1
	global_load_dwordx2 v[10:11], v6, s[2:3]
	s_mov_b64 s[0:1], 0
	s_waitcnt vmcnt(2)
	v_lshl_add_u64 v[0:1], v[4:5], 0, 1
	v_lshl_add_u64 v[12:13], v[0:1], 0, s[4:5]
	v_cmp_eq_u64_e32 vcc, 0, v[12:13]
	s_waitcnt vmcnt(1)
	v_mov_b32_e32 v2, v8
	v_cndmask_b32_e32 v1, v13, v1, vcc
	v_cndmask_b32_e32 v0, v12, v0, vcc
	v_and_b32_e32 v3, v1, v5
	v_and_b32_e32 v4, v0, v4
	v_mul_lo_u32 v3, v3, 24
	v_mul_hi_u32 v5, v4, 24
	v_mul_lo_u32 v4, v4, 24
	v_add_u32_e32 v5, v5, v3
	s_waitcnt vmcnt(0)
	v_lshl_add_u64 v[4:5], v[10:11], 0, v[4:5]
	global_store_dwordx2 v[4:5], v[8:9], off
	v_mov_b32_e32 v3, v9
	buffer_wbl2 sc0 sc1
	s_waitcnt vmcnt(0)
	global_atomic_cmpswap_x2 v[2:3], v6, v[0:3], s[2:3] offset:24 sc0 sc1
	s_waitcnt vmcnt(0)
	v_cmp_ne_u64_e32 vcc, v[2:3], v[8:9]
	s_and_b64 exec, exec, vcc
	s_cbranch_execz .LBB6_25
.LBB6_24:                               ; =>This Inner Loop Header: Depth=1
	s_sleep 1
	global_store_dwordx2 v[4:5], v[2:3], off
	buffer_wbl2 sc0 sc1
	s_waitcnt vmcnt(0)
	global_atomic_cmpswap_x2 v[8:9], v6, v[0:3], s[2:3] offset:24 sc0 sc1
	s_waitcnt vmcnt(0)
	v_cmp_eq_u64_e32 vcc, v[8:9], v[2:3]
	s_or_b64 s[0:1], vcc, s[0:1]
	v_mov_b64_e32 v[2:3], v[8:9]
	s_andn2_b64 exec, exec, s[0:1]
	s_cbranch_execnz .LBB6_24
.LBB6_25:
	s_or_b64 exec, exec, s[6:7]
	s_waitcnt vmcnt(0) lgkmcnt(0)
	s_setpc_b64 s[30:31]
.Lfunc_end6:
	.size	__ockl_printf_append_args, .Lfunc_end6-__ockl_printf_append_args
                                        ; -- End function
	.section	.AMDGPU.csdata,"",@progbits
; Function info:
; codeLenInByte = 1224
; NumSgprs: 38
; NumVgprs: 16
; NumAgprs: 0
; TotalNumVgprs: 16
; ScratchSize: 0
; MemoryBound: 0
	.text
	.p2align	2                               ; -- Begin function _ZL14no_device_codePKciS0_iS0_
	.type	_ZL14no_device_codePKciS0_iS0_,@function
_ZL14no_device_codePKciS0_iS0_:         ; @_ZL14no_device_codePKciS0_iS0_
; %bb.0:
	s_waitcnt vmcnt(0) expcnt(0) lgkmcnt(0)
	s_mov_b32 s22, s33
	s_mov_b32 s33, s32
	s_xor_saveexec_b64 s[0:1], -1
	scratch_store_dword off, v38, s33       ; 4-byte Folded Spill
	s_mov_b64 exec, s[0:1]
	v_writelane_b32 v38, s30, 0
	s_add_i32 s32, s32, 16
	s_nop 0
	v_writelane_b32 v38, s31, 1
	s_load_dwordx2 s[2:3], s[8:9], 0x50
	v_mbcnt_lo_u32_b32 v0, -1, 0
	v_mbcnt_hi_u32_b32 v36, -1, v0
	v_mov_b64_e32 v[4:5], 0
	v_readfirstlane_b32 s0, v36
	s_nop 1
	v_cmp_eq_u32_e64 s[0:1], s0, v36
	s_and_saveexec_b64 s[4:5], s[0:1]
	s_cbranch_execz .LBB7_6
; %bb.1:
	v_mov_b32_e32 v0, 0
	s_waitcnt lgkmcnt(0)
	global_load_dwordx2 v[6:7], v0, s[2:3] offset:24 sc0 sc1
	s_waitcnt vmcnt(0)
	buffer_inv sc0 sc1
	global_load_dwordx2 v[2:3], v0, s[2:3] offset:40
	global_load_dwordx2 v[4:5], v0, s[2:3]
	s_waitcnt vmcnt(1)
	v_and_b32_e32 v1, v2, v6
	v_and_b32_e32 v2, v3, v7
	v_mul_lo_u32 v2, v2, 24
	v_mul_hi_u32 v3, v1, 24
	v_add_u32_e32 v3, v3, v2
	v_mul_lo_u32 v2, v1, 24
	s_waitcnt vmcnt(0)
	v_lshl_add_u64 v[2:3], v[4:5], 0, v[2:3]
	global_load_dwordx2 v[4:5], v[2:3], off sc0 sc1
	s_waitcnt vmcnt(0)
	global_atomic_cmpswap_x2 v[4:5], v0, v[4:7], s[2:3] offset:24 sc0 sc1
	s_waitcnt vmcnt(0)
	buffer_inv sc0 sc1
	v_cmp_ne_u64_e32 vcc, v[4:5], v[6:7]
	s_and_saveexec_b64 s[6:7], vcc
	s_cbranch_execz .LBB7_5
; %bb.2:
	s_mov_b64 s[10:11], 0
.LBB7_3:                                ; =>This Inner Loop Header: Depth=1
	s_sleep 1
	global_load_dwordx2 v[2:3], v0, s[2:3] offset:40
	global_load_dwordx2 v[8:9], v0, s[2:3]
	v_mov_b64_e32 v[6:7], v[4:5]
	s_waitcnt vmcnt(1)
	v_and_b32_e32 v2, v2, v6
	v_and_b32_e32 v1, v3, v7
	s_waitcnt vmcnt(0)
	v_mad_u64_u32 v[2:3], s[12:13], v2, 24, v[8:9]
	v_mov_b32_e32 v4, v3
	v_mad_u64_u32 v[4:5], s[12:13], v1, 24, v[4:5]
	v_mov_b32_e32 v3, v4
	global_load_dwordx2 v[4:5], v[2:3], off sc0 sc1
	s_waitcnt vmcnt(0)
	global_atomic_cmpswap_x2 v[4:5], v0, v[4:7], s[2:3] offset:24 sc0 sc1
	s_waitcnt vmcnt(0)
	buffer_inv sc0 sc1
	v_cmp_eq_u64_e32 vcc, v[4:5], v[6:7]
	s_or_b64 s[10:11], vcc, s[10:11]
	s_andn2_b64 exec, exec, s[10:11]
	s_cbranch_execnz .LBB7_3
; %bb.4:
	s_or_b64 exec, exec, s[10:11]
.LBB7_5:
	s_or_b64 exec, exec, s[6:7]
.LBB7_6:
	s_or_b64 exec, exec, s[4:5]
	v_mov_b32_e32 v29, 0
	s_waitcnt lgkmcnt(0)
	global_load_dwordx2 v[6:7], v29, s[2:3] offset:40
	global_load_dwordx4 v[0:3], v29, s[2:3]
	v_readfirstlane_b32 s4, v4
	v_readfirstlane_b32 s5, v5
	s_mov_b64 s[6:7], exec
	s_waitcnt vmcnt(1)
	v_readfirstlane_b32 s10, v6
	v_readfirstlane_b32 s11, v7
	s_and_b64 s[10:11], s[4:5], s[10:11]
	s_mul_i32 s12, s11, 24
	s_mul_hi_u32 s13, s10, 24
	s_add_i32 s13, s13, s12
	s_mul_i32 s12, s10, 24
	s_waitcnt vmcnt(0)
	v_lshl_add_u64 v[4:5], v[0:1], 0, s[12:13]
	s_and_saveexec_b64 s[12:13], s[0:1]
	s_cbranch_execz .LBB7_8
; %bb.7:
	v_mov_b64_e32 v[6:7], s[6:7]
	v_mov_b32_e32 v8, 2
	v_mov_b32_e32 v9, 1
	global_store_dwordx4 v[4:5], v[6:9], off offset:8
.LBB7_8:
	s_or_b64 exec, exec, s[12:13]
	s_lshl_b64 s[6:7], s[10:11], 12
	v_lshl_add_u64 v[6:7], v[2:3], 0, s[6:7]
	s_mov_b32 s12, 0
	v_lshlrev_b32_e32 v28, 6, v36
	v_mov_b32_e32 v8, 33
	v_mov_b32_e32 v9, v29
	;; [unrolled: 1-line block ×4, first 2 shown]
	v_readfirstlane_b32 s6, v6
	v_readfirstlane_b32 s7, v7
	s_mov_b32 s13, s12
	s_mov_b32 s14, s12
	;; [unrolled: 1-line block ×3, first 2 shown]
	s_nop 1
	global_store_dwordx4 v28, v[8:11], s[6:7]
	s_nop 1
	v_mov_b64_e32 v[8:9], s[12:13]
	v_mov_b64_e32 v[10:11], s[14:15]
	global_store_dwordx4 v28, v[8:11], s[6:7] offset:16
	global_store_dwordx4 v28, v[8:11], s[6:7] offset:32
	;; [unrolled: 1-line block ×3, first 2 shown]
	s_and_saveexec_b64 s[6:7], s[0:1]
	s_cbranch_execz .LBB7_16
; %bb.9:
	v_mov_b32_e32 v10, 0
	global_load_dwordx2 v[14:15], v10, s[2:3] offset:32 sc0 sc1
	global_load_dwordx2 v[2:3], v10, s[2:3] offset:40
	v_mov_b32_e32 v12, s4
	v_mov_b32_e32 v13, s5
	s_waitcnt vmcnt(0)
	v_and_b32_e32 v2, s4, v2
	v_and_b32_e32 v3, s5, v3
	v_mul_lo_u32 v3, v3, 24
	v_mul_hi_u32 v8, v2, 24
	v_mul_lo_u32 v2, v2, 24
	v_add_u32_e32 v3, v8, v3
	v_lshl_add_u64 v[8:9], v[0:1], 0, v[2:3]
	global_store_dwordx2 v[8:9], v[14:15], off
	buffer_wbl2 sc0 sc1
	s_waitcnt vmcnt(0)
	global_atomic_cmpswap_x2 v[2:3], v10, v[12:15], s[2:3] offset:32 sc0 sc1
	s_waitcnt vmcnt(0)
	v_cmp_ne_u64_e32 vcc, v[2:3], v[14:15]
	s_and_saveexec_b64 s[10:11], vcc
	s_cbranch_execz .LBB7_12
; %bb.10:
	s_mov_b64 s[12:13], 0
.LBB7_11:                               ; =>This Inner Loop Header: Depth=1
	s_sleep 1
	global_store_dwordx2 v[8:9], v[2:3], off
	v_mov_b32_e32 v0, s4
	v_mov_b32_e32 v1, s5
	buffer_wbl2 sc0 sc1
	s_waitcnt vmcnt(0)
	global_atomic_cmpswap_x2 v[0:1], v10, v[0:3], s[2:3] offset:32 sc0 sc1
	s_waitcnt vmcnt(0)
	v_cmp_eq_u64_e32 vcc, v[0:1], v[2:3]
	s_or_b64 s[12:13], vcc, s[12:13]
	v_mov_b64_e32 v[2:3], v[0:1]
	s_andn2_b64 exec, exec, s[12:13]
	s_cbranch_execnz .LBB7_11
.LBB7_12:
	s_or_b64 exec, exec, s[10:11]
	v_mov_b32_e32 v3, 0
	global_load_dwordx2 v[0:1], v3, s[2:3] offset:16
	s_mov_b64 s[10:11], exec
	v_mbcnt_lo_u32_b32 v2, s10, 0
	v_mbcnt_hi_u32_b32 v2, s11, v2
	v_cmp_eq_u32_e32 vcc, 0, v2
	s_and_saveexec_b64 s[12:13], vcc
	s_cbranch_execz .LBB7_14
; %bb.13:
	s_bcnt1_i32_b64 s10, s[10:11]
	v_mov_b32_e32 v2, s10
	buffer_wbl2 sc0 sc1
	s_waitcnt vmcnt(0)
	global_atomic_add_x2 v[0:1], v[2:3], off offset:8 sc1
.LBB7_14:
	s_or_b64 exec, exec, s[12:13]
	s_waitcnt vmcnt(0)
	global_load_dwordx2 v[2:3], v[0:1], off offset:16
	s_waitcnt vmcnt(0)
	v_cmp_eq_u64_e32 vcc, 0, v[2:3]
	s_cbranch_vccnz .LBB7_16
; %bb.15:
	global_load_dword v0, v[0:1], off offset:24
	v_mov_b32_e32 v1, 0
	buffer_wbl2 sc0 sc1
	s_waitcnt vmcnt(0)
	global_store_dwordx2 v[2:3], v[0:1], off sc0 sc1
	v_and_b32_e32 v0, 0xffffff, v0
	s_nop 0
	v_readfirstlane_b32 m0, v0
	s_sendmsg sendmsg(MSG_INTERRUPT)
.LBB7_16:
	s_or_b64 exec, exec, s[6:7]
	v_lshl_add_u64 v[0:1], v[6:7], 0, v[28:29]
	s_branch .LBB7_20
.LBB7_17:                               ;   in Loop: Header=BB7_20 Depth=1
	s_or_b64 exec, exec, s[6:7]
	v_readfirstlane_b32 s6, v2
	s_cmp_eq_u32 s6, 0
	s_cbranch_scc1 .LBB7_19
; %bb.18:                               ;   in Loop: Header=BB7_20 Depth=1
	s_sleep 1
	s_cbranch_execnz .LBB7_20
	s_branch .LBB7_22
.LBB7_19:
	s_branch .LBB7_22
.LBB7_20:                               ; =>This Inner Loop Header: Depth=1
	v_mov_b32_e32 v2, 1
	s_and_saveexec_b64 s[6:7], s[0:1]
	s_cbranch_execz .LBB7_17
; %bb.21:                               ;   in Loop: Header=BB7_20 Depth=1
	global_load_dword v2, v[4:5], off offset:20 sc0 sc1
	s_waitcnt vmcnt(0)
	buffer_inv sc0 sc1
	v_and_b32_e32 v2, 1, v2
	s_branch .LBB7_17
.LBB7_22:
	global_load_dwordx2 v[4:5], v[0:1], off
	s_and_saveexec_b64 s[6:7], s[0:1]
	s_cbranch_execz .LBB7_25
; %bb.23:
	v_mov_b32_e32 v8, 0
	global_load_dwordx2 v[6:7], v8, s[2:3] offset:40
	global_load_dwordx2 v[10:11], v8, s[2:3] offset:24 sc0 sc1
	global_load_dwordx2 v[12:13], v8, s[2:3]
	s_mov_b64 s[0:1], 0
	s_waitcnt vmcnt(2)
	v_lshl_add_u64 v[0:1], v[6:7], 0, 1
	v_lshl_add_u64 v[14:15], v[0:1], 0, s[4:5]
	v_cmp_eq_u64_e32 vcc, 0, v[14:15]
	s_waitcnt vmcnt(1)
	v_mov_b32_e32 v2, v10
	v_cndmask_b32_e32 v1, v15, v1, vcc
	v_cndmask_b32_e32 v0, v14, v0, vcc
	v_and_b32_e32 v3, v1, v7
	v_and_b32_e32 v6, v0, v6
	v_mul_lo_u32 v3, v3, 24
	v_mul_hi_u32 v7, v6, 24
	v_mul_lo_u32 v6, v6, 24
	v_add_u32_e32 v7, v7, v3
	s_waitcnt vmcnt(0)
	v_lshl_add_u64 v[6:7], v[12:13], 0, v[6:7]
	global_store_dwordx2 v[6:7], v[10:11], off
	v_mov_b32_e32 v3, v11
	buffer_wbl2 sc0 sc1
	s_waitcnt vmcnt(0)
	global_atomic_cmpswap_x2 v[2:3], v8, v[0:3], s[2:3] offset:24 sc0 sc1
	s_waitcnt vmcnt(0)
	v_cmp_ne_u64_e32 vcc, v[2:3], v[10:11]
	s_and_b64 exec, exec, vcc
	s_cbranch_execz .LBB7_25
.LBB7_24:                               ; =>This Inner Loop Header: Depth=1
	s_sleep 1
	global_store_dwordx2 v[6:7], v[2:3], off
	buffer_wbl2 sc0 sc1
	s_waitcnt vmcnt(0)
	global_atomic_cmpswap_x2 v[10:11], v8, v[0:3], s[2:3] offset:24 sc0 sc1
	s_waitcnt vmcnt(0)
	v_cmp_eq_u64_e32 vcc, v[10:11], v[2:3]
	s_or_b64 s[0:1], vcc, s[0:1]
	v_mov_b64_e32 v[2:3], v[10:11]
	s_andn2_b64 exec, exec, s[0:1]
	s_cbranch_execnz .LBB7_24
.LBB7_25:
	s_or_b64 exec, exec, s[6:7]
	s_getpc_b64 s[4:5]
	s_add_u32 s4, s4, .str.3@rel32@lo+4
	s_addc_u32 s5, s5, .str.3@rel32@hi+12
	s_cmp_lg_u64 s[4:5], 0
	s_cbranch_scc0 .LBB7_109
; %bb.26:
	s_waitcnt vmcnt(0)
	v_and_b32_e32 v26, 2, v4
	v_mov_b32_e32 v31, 0
	v_and_b32_e32 v0, -3, v4
	v_mov_b32_e32 v1, v5
	s_mov_b64 s[6:7], 0x4d
	v_mov_b32_e32 v8, 2
	v_mov_b32_e32 v9, 1
	s_branch .LBB7_28
.LBB7_27:                               ;   in Loop: Header=BB7_28 Depth=1
	s_or_b64 exec, exec, s[14:15]
	s_sub_u32 s6, s6, s10
	s_subb_u32 s7, s7, s11
	s_add_u32 s4, s4, s10
	s_addc_u32 s5, s5, s11
	s_cmp_lg_u64 s[6:7], 0
	s_cbranch_scc0 .LBB7_110
.LBB7_28:                               ; =>This Loop Header: Depth=1
                                        ;     Child Loop BB7_31 Depth 2
                                        ;     Child Loop BB7_38 Depth 2
                                        ;     Child Loop BB7_46 Depth 2
                                        ;     Child Loop BB7_54 Depth 2
                                        ;     Child Loop BB7_62 Depth 2
                                        ;     Child Loop BB7_70 Depth 2
                                        ;     Child Loop BB7_78 Depth 2
                                        ;     Child Loop BB7_86 Depth 2
                                        ;     Child Loop BB7_94 Depth 2
                                        ;     Child Loop BB7_103 Depth 2
                                        ;     Child Loop BB7_108 Depth 2
	v_cmp_lt_u64_e64 s[0:1], s[6:7], 56
	s_and_b64 s[0:1], s[0:1], exec
	v_cmp_gt_u64_e64 s[0:1], s[6:7], 7
	s_cselect_b32 s11, s7, 0
	s_cselect_b32 s10, s6, 56
	s_and_b64 vcc, exec, s[0:1]
	s_cbranch_vccnz .LBB7_33
; %bb.29:                               ;   in Loop: Header=BB7_28 Depth=1
	s_mov_b64 s[0:1], 0
	s_cmp_eq_u64 s[6:7], 0
	s_waitcnt vmcnt(0)
	v_mov_b64_e32 v[2:3], 0
	s_cbranch_scc1 .LBB7_32
; %bb.30:                               ;   in Loop: Header=BB7_28 Depth=1
	s_lshl_b64 s[12:13], s[10:11], 3
	s_mov_b64 s[14:15], 0
	v_mov_b64_e32 v[2:3], 0
	s_mov_b64 s[16:17], s[4:5]
.LBB7_31:                               ;   Parent Loop BB7_28 Depth=1
                                        ; =>  This Inner Loop Header: Depth=2
	global_load_ubyte v6, v31, s[16:17]
	s_waitcnt vmcnt(0)
	v_and_b32_e32 v30, 0xffff, v6
	v_lshlrev_b64 v[6:7], s14, v[30:31]
	s_add_u32 s14, s14, 8
	s_addc_u32 s15, s15, 0
	s_add_u32 s16, s16, 1
	s_addc_u32 s17, s17, 0
	v_or_b32_e32 v2, v6, v2
	s_cmp_lg_u32 s12, s14
	v_or_b32_e32 v3, v7, v3
	s_cbranch_scc1 .LBB7_31
.LBB7_32:                               ;   in Loop: Header=BB7_28 Depth=1
	s_mov_b32 s16, 0
	s_andn2_b64 vcc, exec, s[0:1]
	s_mov_b64 s[0:1], s[4:5]
	s_cbranch_vccz .LBB7_34
	s_branch .LBB7_35
.LBB7_33:                               ;   in Loop: Header=BB7_28 Depth=1
                                        ; implicit-def: $vgpr2_vgpr3
                                        ; implicit-def: $sgpr16
	s_mov_b64 s[0:1], s[4:5]
.LBB7_34:                               ;   in Loop: Header=BB7_28 Depth=1
	global_load_dwordx2 v[2:3], v31, s[4:5]
	s_add_i32 s16, s10, -8
	s_add_u32 s0, s4, 8
	s_addc_u32 s1, s5, 0
.LBB7_35:                               ;   in Loop: Header=BB7_28 Depth=1
	s_cmp_gt_u32 s16, 7
	s_cbranch_scc1 .LBB7_39
; %bb.36:                               ;   in Loop: Header=BB7_28 Depth=1
	s_cmp_eq_u32 s16, 0
	s_cbranch_scc1 .LBB7_40
; %bb.37:                               ;   in Loop: Header=BB7_28 Depth=1
	s_mov_b64 s[12:13], 0
	v_mov_b64_e32 v[10:11], 0
	s_mov_b64 s[14:15], 0
.LBB7_38:                               ;   Parent Loop BB7_28 Depth=1
                                        ; =>  This Inner Loop Header: Depth=2
	s_add_u32 s18, s0, s14
	s_addc_u32 s19, s1, s15
	global_load_ubyte v6, v31, s[18:19]
	s_add_u32 s14, s14, 1
	s_addc_u32 s15, s15, 0
	s_waitcnt vmcnt(0)
	v_and_b32_e32 v30, 0xffff, v6
	v_lshlrev_b64 v[6:7], s12, v[30:31]
	s_add_u32 s12, s12, 8
	s_addc_u32 s13, s13, 0
	v_or_b32_e32 v10, v6, v10
	s_cmp_lg_u32 s16, s14
	v_or_b32_e32 v11, v7, v11
	s_cbranch_scc1 .LBB7_38
	s_branch .LBB7_41
.LBB7_39:                               ;   in Loop: Header=BB7_28 Depth=1
                                        ; implicit-def: $vgpr10_vgpr11
                                        ; implicit-def: $sgpr17
	s_branch .LBB7_42
.LBB7_40:                               ;   in Loop: Header=BB7_28 Depth=1
	v_mov_b64_e32 v[10:11], 0
.LBB7_41:                               ;   in Loop: Header=BB7_28 Depth=1
	s_mov_b32 s17, 0
	s_cbranch_execnz .LBB7_43
.LBB7_42:                               ;   in Loop: Header=BB7_28 Depth=1
	global_load_dwordx2 v[10:11], v31, s[0:1]
	s_add_i32 s17, s16, -8
	s_add_u32 s0, s0, 8
	s_addc_u32 s1, s1, 0
.LBB7_43:                               ;   in Loop: Header=BB7_28 Depth=1
	s_cmp_gt_u32 s17, 7
	s_cbranch_scc1 .LBB7_47
; %bb.44:                               ;   in Loop: Header=BB7_28 Depth=1
	s_cmp_eq_u32 s17, 0
	s_cbranch_scc1 .LBB7_48
; %bb.45:                               ;   in Loop: Header=BB7_28 Depth=1
	s_mov_b64 s[12:13], 0
	v_mov_b64_e32 v[12:13], 0
	s_mov_b64 s[14:15], 0
.LBB7_46:                               ;   Parent Loop BB7_28 Depth=1
                                        ; =>  This Inner Loop Header: Depth=2
	s_add_u32 s18, s0, s14
	s_addc_u32 s19, s1, s15
	global_load_ubyte v6, v31, s[18:19]
	s_add_u32 s14, s14, 1
	s_addc_u32 s15, s15, 0
	s_waitcnt vmcnt(0)
	v_and_b32_e32 v30, 0xffff, v6
	v_lshlrev_b64 v[6:7], s12, v[30:31]
	s_add_u32 s12, s12, 8
	s_addc_u32 s13, s13, 0
	v_or_b32_e32 v12, v6, v12
	s_cmp_lg_u32 s17, s14
	v_or_b32_e32 v13, v7, v13
	s_cbranch_scc1 .LBB7_46
	s_branch .LBB7_49
.LBB7_47:                               ;   in Loop: Header=BB7_28 Depth=1
                                        ; implicit-def: $sgpr16
	s_branch .LBB7_50
.LBB7_48:                               ;   in Loop: Header=BB7_28 Depth=1
	v_mov_b64_e32 v[12:13], 0
.LBB7_49:                               ;   in Loop: Header=BB7_28 Depth=1
	s_mov_b32 s16, 0
	s_cbranch_execnz .LBB7_51
.LBB7_50:                               ;   in Loop: Header=BB7_28 Depth=1
	global_load_dwordx2 v[12:13], v31, s[0:1]
	s_add_i32 s16, s17, -8
	s_add_u32 s0, s0, 8
	s_addc_u32 s1, s1, 0
.LBB7_51:                               ;   in Loop: Header=BB7_28 Depth=1
	s_cmp_gt_u32 s16, 7
	s_cbranch_scc1 .LBB7_55
; %bb.52:                               ;   in Loop: Header=BB7_28 Depth=1
	s_cmp_eq_u32 s16, 0
	s_cbranch_scc1 .LBB7_56
; %bb.53:                               ;   in Loop: Header=BB7_28 Depth=1
	s_mov_b64 s[12:13], 0
	v_mov_b64_e32 v[14:15], 0
	s_mov_b64 s[14:15], 0
.LBB7_54:                               ;   Parent Loop BB7_28 Depth=1
                                        ; =>  This Inner Loop Header: Depth=2
	s_add_u32 s18, s0, s14
	s_addc_u32 s19, s1, s15
	global_load_ubyte v6, v31, s[18:19]
	s_add_u32 s14, s14, 1
	s_addc_u32 s15, s15, 0
	s_waitcnt vmcnt(0)
	v_and_b32_e32 v30, 0xffff, v6
	v_lshlrev_b64 v[6:7], s12, v[30:31]
	s_add_u32 s12, s12, 8
	s_addc_u32 s13, s13, 0
	v_or_b32_e32 v14, v6, v14
	s_cmp_lg_u32 s16, s14
	v_or_b32_e32 v15, v7, v15
	s_cbranch_scc1 .LBB7_54
	s_branch .LBB7_57
.LBB7_55:                               ;   in Loop: Header=BB7_28 Depth=1
                                        ; implicit-def: $vgpr14_vgpr15
                                        ; implicit-def: $sgpr17
	s_branch .LBB7_58
.LBB7_56:                               ;   in Loop: Header=BB7_28 Depth=1
	v_mov_b64_e32 v[14:15], 0
.LBB7_57:                               ;   in Loop: Header=BB7_28 Depth=1
	s_mov_b32 s17, 0
	s_cbranch_execnz .LBB7_59
.LBB7_58:                               ;   in Loop: Header=BB7_28 Depth=1
	global_load_dwordx2 v[14:15], v31, s[0:1]
	s_add_i32 s17, s16, -8
	s_add_u32 s0, s0, 8
	s_addc_u32 s1, s1, 0
.LBB7_59:                               ;   in Loop: Header=BB7_28 Depth=1
	s_cmp_gt_u32 s17, 7
	s_cbranch_scc1 .LBB7_63
; %bb.60:                               ;   in Loop: Header=BB7_28 Depth=1
	s_cmp_eq_u32 s17, 0
	s_cbranch_scc1 .LBB7_64
; %bb.61:                               ;   in Loop: Header=BB7_28 Depth=1
	s_mov_b64 s[12:13], 0
	v_mov_b64_e32 v[16:17], 0
	s_mov_b64 s[14:15], 0
.LBB7_62:                               ;   Parent Loop BB7_28 Depth=1
                                        ; =>  This Inner Loop Header: Depth=2
	s_add_u32 s18, s0, s14
	s_addc_u32 s19, s1, s15
	global_load_ubyte v6, v31, s[18:19]
	s_add_u32 s14, s14, 1
	s_addc_u32 s15, s15, 0
	s_waitcnt vmcnt(0)
	v_and_b32_e32 v30, 0xffff, v6
	v_lshlrev_b64 v[6:7], s12, v[30:31]
	s_add_u32 s12, s12, 8
	s_addc_u32 s13, s13, 0
	v_or_b32_e32 v16, v6, v16
	s_cmp_lg_u32 s17, s14
	v_or_b32_e32 v17, v7, v17
	s_cbranch_scc1 .LBB7_62
	s_branch .LBB7_65
.LBB7_63:                               ;   in Loop: Header=BB7_28 Depth=1
                                        ; implicit-def: $sgpr16
	s_branch .LBB7_66
.LBB7_64:                               ;   in Loop: Header=BB7_28 Depth=1
	v_mov_b64_e32 v[16:17], 0
.LBB7_65:                               ;   in Loop: Header=BB7_28 Depth=1
	s_mov_b32 s16, 0
	s_cbranch_execnz .LBB7_67
.LBB7_66:                               ;   in Loop: Header=BB7_28 Depth=1
	global_load_dwordx2 v[16:17], v31, s[0:1]
	s_add_i32 s16, s17, -8
	s_add_u32 s0, s0, 8
	s_addc_u32 s1, s1, 0
.LBB7_67:                               ;   in Loop: Header=BB7_28 Depth=1
	s_cmp_gt_u32 s16, 7
	s_cbranch_scc1 .LBB7_71
; %bb.68:                               ;   in Loop: Header=BB7_28 Depth=1
	s_cmp_eq_u32 s16, 0
	s_cbranch_scc1 .LBB7_72
; %bb.69:                               ;   in Loop: Header=BB7_28 Depth=1
	s_mov_b64 s[12:13], 0
	v_mov_b64_e32 v[18:19], 0
	s_mov_b64 s[14:15], 0
.LBB7_70:                               ;   Parent Loop BB7_28 Depth=1
                                        ; =>  This Inner Loop Header: Depth=2
	s_add_u32 s18, s0, s14
	s_addc_u32 s19, s1, s15
	global_load_ubyte v6, v31, s[18:19]
	s_add_u32 s14, s14, 1
	s_addc_u32 s15, s15, 0
	s_waitcnt vmcnt(0)
	v_and_b32_e32 v30, 0xffff, v6
	v_lshlrev_b64 v[6:7], s12, v[30:31]
	s_add_u32 s12, s12, 8
	s_addc_u32 s13, s13, 0
	v_or_b32_e32 v18, v6, v18
	s_cmp_lg_u32 s16, s14
	v_or_b32_e32 v19, v7, v19
	s_cbranch_scc1 .LBB7_70
	s_branch .LBB7_73
.LBB7_71:                               ;   in Loop: Header=BB7_28 Depth=1
                                        ; implicit-def: $vgpr18_vgpr19
                                        ; implicit-def: $sgpr17
	s_branch .LBB7_74
.LBB7_72:                               ;   in Loop: Header=BB7_28 Depth=1
	v_mov_b64_e32 v[18:19], 0
.LBB7_73:                               ;   in Loop: Header=BB7_28 Depth=1
	s_mov_b32 s17, 0
	s_cbranch_execnz .LBB7_75
.LBB7_74:                               ;   in Loop: Header=BB7_28 Depth=1
	global_load_dwordx2 v[18:19], v31, s[0:1]
	s_add_i32 s17, s16, -8
	s_add_u32 s0, s0, 8
	s_addc_u32 s1, s1, 0
.LBB7_75:                               ;   in Loop: Header=BB7_28 Depth=1
	s_cmp_gt_u32 s17, 7
	s_cbranch_scc1 .LBB7_79
; %bb.76:                               ;   in Loop: Header=BB7_28 Depth=1
	s_cmp_eq_u32 s17, 0
	s_cbranch_scc1 .LBB7_80
; %bb.77:                               ;   in Loop: Header=BB7_28 Depth=1
	s_mov_b64 s[12:13], 0
	v_mov_b64_e32 v[20:21], 0
	s_mov_b64 s[14:15], s[0:1]
.LBB7_78:                               ;   Parent Loop BB7_28 Depth=1
                                        ; =>  This Inner Loop Header: Depth=2
	global_load_ubyte v6, v31, s[14:15]
	s_add_i32 s17, s17, -1
	s_waitcnt vmcnt(0)
	v_and_b32_e32 v30, 0xffff, v6
	v_lshlrev_b64 v[6:7], s12, v[30:31]
	s_add_u32 s12, s12, 8
	s_addc_u32 s13, s13, 0
	s_add_u32 s14, s14, 1
	s_addc_u32 s15, s15, 0
	v_or_b32_e32 v20, v6, v20
	s_cmp_lg_u32 s17, 0
	v_or_b32_e32 v21, v7, v21
	s_cbranch_scc1 .LBB7_78
	s_branch .LBB7_81
.LBB7_79:                               ;   in Loop: Header=BB7_28 Depth=1
	s_branch .LBB7_82
.LBB7_80:                               ;   in Loop: Header=BB7_28 Depth=1
	v_mov_b64_e32 v[20:21], 0
.LBB7_81:                               ;   in Loop: Header=BB7_28 Depth=1
	s_cbranch_execnz .LBB7_83
.LBB7_82:                               ;   in Loop: Header=BB7_28 Depth=1
	global_load_dwordx2 v[20:21], v31, s[0:1]
.LBB7_83:                               ;   in Loop: Header=BB7_28 Depth=1
	v_readfirstlane_b32 s0, v36
	v_mov_b64_e32 v[6:7], 0
	s_nop 0
	v_cmp_eq_u32_e64 s[0:1], s0, v36
	s_and_saveexec_b64 s[12:13], s[0:1]
	s_cbranch_execz .LBB7_89
; %bb.84:                               ;   in Loop: Header=BB7_28 Depth=1
	global_load_dwordx2 v[24:25], v31, s[2:3] offset:24 sc0 sc1
	s_waitcnt vmcnt(0)
	buffer_inv sc0 sc1
	global_load_dwordx2 v[6:7], v31, s[2:3] offset:40
	global_load_dwordx2 v[22:23], v31, s[2:3]
	s_waitcnt vmcnt(1)
	v_and_b32_e32 v6, v6, v24
	v_and_b32_e32 v7, v7, v25
	v_mul_lo_u32 v7, v7, 24
	v_mul_hi_u32 v27, v6, 24
	v_add_u32_e32 v7, v27, v7
	v_mul_lo_u32 v6, v6, 24
	s_waitcnt vmcnt(0)
	v_lshl_add_u64 v[6:7], v[22:23], 0, v[6:7]
	global_load_dwordx2 v[22:23], v[6:7], off sc0 sc1
	s_waitcnt vmcnt(0)
	global_atomic_cmpswap_x2 v[6:7], v31, v[22:25], s[2:3] offset:24 sc0 sc1
	s_waitcnt vmcnt(0)
	buffer_inv sc0 sc1
	v_cmp_ne_u64_e32 vcc, v[6:7], v[24:25]
	s_and_saveexec_b64 s[14:15], vcc
	s_cbranch_execz .LBB7_88
; %bb.85:                               ;   in Loop: Header=BB7_28 Depth=1
	s_mov_b64 s[16:17], 0
.LBB7_86:                               ;   Parent Loop BB7_28 Depth=1
                                        ; =>  This Inner Loop Header: Depth=2
	s_sleep 1
	global_load_dwordx2 v[22:23], v31, s[2:3] offset:40
	global_load_dwordx2 v[32:33], v31, s[2:3]
	v_mov_b64_e32 v[24:25], v[6:7]
	s_waitcnt vmcnt(1)
	v_and_b32_e32 v6, v22, v24
	s_waitcnt vmcnt(0)
	v_mad_u64_u32 v[6:7], s[18:19], v6, 24, v[32:33]
	v_and_b32_e32 v23, v23, v25
	v_mov_b32_e32 v22, v7
	v_mad_u64_u32 v[22:23], s[18:19], v23, 24, v[22:23]
	v_mov_b32_e32 v7, v22
	global_load_dwordx2 v[22:23], v[6:7], off sc0 sc1
	s_waitcnt vmcnt(0)
	global_atomic_cmpswap_x2 v[6:7], v31, v[22:25], s[2:3] offset:24 sc0 sc1
	s_waitcnt vmcnt(0)
	buffer_inv sc0 sc1
	v_cmp_eq_u64_e32 vcc, v[6:7], v[24:25]
	s_or_b64 s[16:17], vcc, s[16:17]
	s_andn2_b64 exec, exec, s[16:17]
	s_cbranch_execnz .LBB7_86
; %bb.87:                               ;   in Loop: Header=BB7_28 Depth=1
	s_or_b64 exec, exec, s[16:17]
.LBB7_88:                               ;   in Loop: Header=BB7_28 Depth=1
	s_or_b64 exec, exec, s[14:15]
.LBB7_89:                               ;   in Loop: Header=BB7_28 Depth=1
	s_or_b64 exec, exec, s[12:13]
	global_load_dwordx2 v[32:33], v31, s[2:3] offset:40
	global_load_dwordx4 v[22:25], v31, s[2:3]
	v_readfirstlane_b32 s12, v6
	v_readfirstlane_b32 s13, v7
	s_mov_b64 s[14:15], exec
	s_waitcnt vmcnt(1)
	v_readfirstlane_b32 s16, v32
	v_readfirstlane_b32 s17, v33
	s_and_b64 s[16:17], s[12:13], s[16:17]
	s_mul_i32 s18, s17, 24
	s_mul_hi_u32 s19, s16, 24
	s_add_i32 s19, s19, s18
	s_mul_i32 s18, s16, 24
	s_waitcnt vmcnt(0)
	v_lshl_add_u64 v[32:33], v[22:23], 0, s[18:19]
	s_and_saveexec_b64 s[18:19], s[0:1]
	s_cbranch_execz .LBB7_91
; %bb.90:                               ;   in Loop: Header=BB7_28 Depth=1
	v_mov_b64_e32 v[6:7], s[14:15]
	global_store_dwordx4 v[32:33], v[6:9], off offset:8
.LBB7_91:                               ;   in Loop: Header=BB7_28 Depth=1
	s_or_b64 exec, exec, s[18:19]
	s_lshl_b64 s[14:15], s[16:17], 12
	v_lshl_add_u64 v[6:7], v[24:25], 0, s[14:15]
	v_or_b32_e32 v25, v0, v26
	v_cmp_gt_u64_e64 vcc, s[6:7], 56
	s_lshl_b32 s14, s10, 2
	s_add_i32 s14, s14, 28
	v_cndmask_b32_e32 v0, v25, v0, vcc
	v_or_b32_e32 v24, 0, v1
	s_and_b32 s14, s14, 0x1e0
	v_and_b32_e32 v0, 0xffffff1f, v0
	v_cndmask_b32_e32 v1, v24, v1, vcc
	v_or_b32_e32 v0, s14, v0
	v_readfirstlane_b32 s14, v6
	v_readfirstlane_b32 s15, v7
	s_nop 4
	global_store_dwordx4 v28, v[0:3], s[14:15]
	global_store_dwordx4 v28, v[10:13], s[14:15] offset:16
	global_store_dwordx4 v28, v[14:17], s[14:15] offset:32
	;; [unrolled: 1-line block ×3, first 2 shown]
	s_and_saveexec_b64 s[14:15], s[0:1]
	s_cbranch_execz .LBB7_99
; %bb.92:                               ;   in Loop: Header=BB7_28 Depth=1
	global_load_dwordx2 v[14:15], v31, s[2:3] offset:32 sc0 sc1
	global_load_dwordx2 v[0:1], v31, s[2:3] offset:40
	v_mov_b32_e32 v12, s12
	v_mov_b32_e32 v13, s13
	s_waitcnt vmcnt(0)
	v_readfirstlane_b32 s16, v0
	v_readfirstlane_b32 s17, v1
	s_and_b64 s[16:17], s[16:17], s[12:13]
	s_mul_i32 s17, s17, 24
	s_mul_hi_u32 s18, s16, 24
	s_mul_i32 s16, s16, 24
	s_add_i32 s17, s18, s17
	v_lshl_add_u64 v[10:11], v[22:23], 0, s[16:17]
	global_store_dwordx2 v[10:11], v[14:15], off
	buffer_wbl2 sc0 sc1
	s_waitcnt vmcnt(0)
	global_atomic_cmpswap_x2 v[2:3], v31, v[12:15], s[2:3] offset:32 sc0 sc1
	s_waitcnt vmcnt(0)
	v_cmp_ne_u64_e32 vcc, v[2:3], v[14:15]
	s_and_saveexec_b64 s[16:17], vcc
	s_cbranch_execz .LBB7_95
; %bb.93:                               ;   in Loop: Header=BB7_28 Depth=1
	s_mov_b64 s[18:19], 0
.LBB7_94:                               ;   Parent Loop BB7_28 Depth=1
                                        ; =>  This Inner Loop Header: Depth=2
	s_sleep 1
	global_store_dwordx2 v[10:11], v[2:3], off
	v_mov_b32_e32 v0, s12
	v_mov_b32_e32 v1, s13
	buffer_wbl2 sc0 sc1
	s_waitcnt vmcnt(0)
	global_atomic_cmpswap_x2 v[0:1], v31, v[0:3], s[2:3] offset:32 sc0 sc1
	s_waitcnt vmcnt(0)
	v_cmp_eq_u64_e32 vcc, v[0:1], v[2:3]
	s_or_b64 s[18:19], vcc, s[18:19]
	v_mov_b64_e32 v[2:3], v[0:1]
	s_andn2_b64 exec, exec, s[18:19]
	s_cbranch_execnz .LBB7_94
.LBB7_95:                               ;   in Loop: Header=BB7_28 Depth=1
	s_or_b64 exec, exec, s[16:17]
	global_load_dwordx2 v[0:1], v31, s[2:3] offset:16
	s_mov_b64 s[18:19], exec
	v_mbcnt_lo_u32_b32 v2, s18, 0
	v_mbcnt_hi_u32_b32 v2, s19, v2
	v_cmp_eq_u32_e32 vcc, 0, v2
	s_and_saveexec_b64 s[16:17], vcc
	s_cbranch_execz .LBB7_97
; %bb.96:                               ;   in Loop: Header=BB7_28 Depth=1
	s_bcnt1_i32_b64 s18, s[18:19]
	v_mov_b32_e32 v30, s18
	buffer_wbl2 sc0 sc1
	s_waitcnt vmcnt(0)
	global_atomic_add_x2 v[0:1], v[30:31], off offset:8 sc1
.LBB7_97:                               ;   in Loop: Header=BB7_28 Depth=1
	s_or_b64 exec, exec, s[16:17]
	s_waitcnt vmcnt(0)
	global_load_dwordx2 v[2:3], v[0:1], off offset:16
	s_waitcnt vmcnt(0)
	v_cmp_eq_u64_e32 vcc, 0, v[2:3]
	s_cbranch_vccnz .LBB7_99
; %bb.98:                               ;   in Loop: Header=BB7_28 Depth=1
	global_load_dword v30, v[0:1], off offset:24
	s_waitcnt vmcnt(0)
	v_and_b32_e32 v0, 0xffffff, v30
	s_nop 0
	v_readfirstlane_b32 m0, v0
	buffer_wbl2 sc0 sc1
	global_store_dwordx2 v[2:3], v[30:31], off sc0 sc1
	s_sendmsg sendmsg(MSG_INTERRUPT)
.LBB7_99:                               ;   in Loop: Header=BB7_28 Depth=1
	s_or_b64 exec, exec, s[14:15]
	v_mov_b32_e32 v29, v31
	v_lshl_add_u64 v[0:1], v[6:7], 0, v[28:29]
	s_branch .LBB7_103
.LBB7_100:                              ;   in Loop: Header=BB7_103 Depth=2
	s_or_b64 exec, exec, s[14:15]
	v_readfirstlane_b32 s14, v2
	s_cmp_eq_u32 s14, 0
	s_cbranch_scc1 .LBB7_102
; %bb.101:                              ;   in Loop: Header=BB7_103 Depth=2
	s_sleep 1
	s_cbranch_execnz .LBB7_103
	s_branch .LBB7_105
.LBB7_102:                              ;   in Loop: Header=BB7_28 Depth=1
	s_branch .LBB7_105
.LBB7_103:                              ;   Parent Loop BB7_28 Depth=1
                                        ; =>  This Inner Loop Header: Depth=2
	v_mov_b32_e32 v2, 1
	s_and_saveexec_b64 s[14:15], s[0:1]
	s_cbranch_execz .LBB7_100
; %bb.104:                              ;   in Loop: Header=BB7_103 Depth=2
	global_load_dword v2, v[32:33], off offset:20 sc0 sc1
	s_waitcnt vmcnt(0)
	buffer_inv sc0 sc1
	v_and_b32_e32 v2, 1, v2
	s_branch .LBB7_100
.LBB7_105:                              ;   in Loop: Header=BB7_28 Depth=1
	global_load_dwordx4 v[0:3], v[0:1], off
	s_and_saveexec_b64 s[14:15], s[0:1]
	s_cbranch_execz .LBB7_27
; %bb.106:                              ;   in Loop: Header=BB7_28 Depth=1
	global_load_dwordx2 v[2:3], v31, s[2:3] offset:40
	global_load_dwordx2 v[6:7], v31, s[2:3] offset:24 sc0 sc1
	global_load_dwordx2 v[14:15], v31, s[2:3]
	s_waitcnt vmcnt(2)
	v_lshl_add_u64 v[10:11], v[2:3], 0, 1
	v_lshl_add_u64 v[16:17], v[10:11], 0, s[12:13]
	v_cmp_eq_u64_e32 vcc, 0, v[16:17]
	s_waitcnt vmcnt(1)
	v_mov_b32_e32 v12, v6
	v_cndmask_b32_e32 v11, v17, v11, vcc
	v_cndmask_b32_e32 v10, v16, v10, vcc
	v_and_b32_e32 v3, v11, v3
	v_and_b32_e32 v2, v10, v2
	v_mul_lo_u32 v3, v3, 24
	v_mul_hi_u32 v13, v2, 24
	v_mul_lo_u32 v2, v2, 24
	v_add_u32_e32 v3, v13, v3
	s_waitcnt vmcnt(0)
	v_lshl_add_u64 v[2:3], v[14:15], 0, v[2:3]
	global_store_dwordx2 v[2:3], v[6:7], off
	v_mov_b32_e32 v13, v7
	buffer_wbl2 sc0 sc1
	s_waitcnt vmcnt(0)
	global_atomic_cmpswap_x2 v[12:13], v31, v[10:13], s[2:3] offset:24 sc0 sc1
	s_waitcnt vmcnt(0)
	v_cmp_ne_u64_e32 vcc, v[12:13], v[6:7]
	s_and_b64 exec, exec, vcc
	s_cbranch_execz .LBB7_27
; %bb.107:                              ;   in Loop: Header=BB7_28 Depth=1
	s_mov_b64 s[0:1], 0
.LBB7_108:                              ;   Parent Loop BB7_28 Depth=1
                                        ; =>  This Inner Loop Header: Depth=2
	s_sleep 1
	global_store_dwordx2 v[2:3], v[12:13], off
	buffer_wbl2 sc0 sc1
	s_waitcnt vmcnt(0)
	global_atomic_cmpswap_x2 v[6:7], v31, v[10:13], s[2:3] offset:24 sc0 sc1
	s_waitcnt vmcnt(0)
	v_cmp_eq_u64_e32 vcc, v[6:7], v[12:13]
	s_or_b64 s[0:1], vcc, s[0:1]
	v_mov_b64_e32 v[12:13], v[6:7]
	s_andn2_b64 exec, exec, s[0:1]
	s_cbranch_execnz .LBB7_108
	s_branch .LBB7_27
.LBB7_109:
                                        ; implicit-def: $vgpr0_vgpr1
	s_cbranch_execnz .LBB7_111
	s_branch .LBB7_137
.LBB7_110:
	s_branch .LBB7_137
.LBB7_111:
	v_readfirstlane_b32 s0, v36
	v_mov_b64_e32 v[6:7], 0
	s_nop 0
	v_cmp_eq_u32_e64 s[0:1], s0, v36
	s_and_saveexec_b64 s[4:5], s[0:1]
	s_cbranch_execz .LBB7_117
; %bb.112:
	s_waitcnt vmcnt(0)
	v_mov_b32_e32 v0, 0
	global_load_dwordx2 v[8:9], v0, s[2:3] offset:24 sc0 sc1
	s_waitcnt vmcnt(0)
	buffer_inv sc0 sc1
	global_load_dwordx2 v[2:3], v0, s[2:3] offset:40
	global_load_dwordx2 v[6:7], v0, s[2:3]
	s_waitcnt vmcnt(1)
	v_and_b32_e32 v1, v2, v8
	v_and_b32_e32 v2, v3, v9
	v_mul_lo_u32 v2, v2, 24
	v_mul_hi_u32 v3, v1, 24
	v_add_u32_e32 v3, v3, v2
	v_mul_lo_u32 v2, v1, 24
	s_waitcnt vmcnt(0)
	v_lshl_add_u64 v[2:3], v[6:7], 0, v[2:3]
	global_load_dwordx2 v[6:7], v[2:3], off sc0 sc1
	s_waitcnt vmcnt(0)
	global_atomic_cmpswap_x2 v[6:7], v0, v[6:9], s[2:3] offset:24 sc0 sc1
	s_waitcnt vmcnt(0)
	buffer_inv sc0 sc1
	v_cmp_ne_u64_e32 vcc, v[6:7], v[8:9]
	s_and_saveexec_b64 s[6:7], vcc
	s_cbranch_execz .LBB7_116
; %bb.113:
	s_mov_b64 s[10:11], 0
.LBB7_114:                              ; =>This Inner Loop Header: Depth=1
	s_sleep 1
	global_load_dwordx2 v[2:3], v0, s[2:3] offset:40
	global_load_dwordx2 v[10:11], v0, s[2:3]
	v_mov_b64_e32 v[8:9], v[6:7]
	s_waitcnt vmcnt(1)
	v_and_b32_e32 v2, v2, v8
	v_and_b32_e32 v1, v3, v9
	s_waitcnt vmcnt(0)
	v_mad_u64_u32 v[2:3], s[12:13], v2, 24, v[10:11]
	v_mov_b32_e32 v6, v3
	v_mad_u64_u32 v[6:7], s[12:13], v1, 24, v[6:7]
	v_mov_b32_e32 v3, v6
	global_load_dwordx2 v[6:7], v[2:3], off sc0 sc1
	s_waitcnt vmcnt(0)
	global_atomic_cmpswap_x2 v[6:7], v0, v[6:9], s[2:3] offset:24 sc0 sc1
	s_waitcnt vmcnt(0)
	buffer_inv sc0 sc1
	v_cmp_eq_u64_e32 vcc, v[6:7], v[8:9]
	s_or_b64 s[10:11], vcc, s[10:11]
	s_andn2_b64 exec, exec, s[10:11]
	s_cbranch_execnz .LBB7_114
; %bb.115:
	s_or_b64 exec, exec, s[10:11]
.LBB7_116:
	s_or_b64 exec, exec, s[6:7]
.LBB7_117:
	s_or_b64 exec, exec, s[4:5]
	v_mov_b32_e32 v29, 0
	global_load_dwordx2 v[8:9], v29, s[2:3] offset:40
	global_load_dwordx4 v[0:3], v29, s[2:3]
	v_readfirstlane_b32 s4, v6
	v_readfirstlane_b32 s5, v7
	s_mov_b64 s[6:7], exec
	s_waitcnt vmcnt(1)
	v_readfirstlane_b32 s10, v8
	v_readfirstlane_b32 s11, v9
	s_and_b64 s[10:11], s[4:5], s[10:11]
	s_mul_i32 s12, s11, 24
	s_mul_hi_u32 s13, s10, 24
	s_add_i32 s13, s13, s12
	s_mul_i32 s12, s10, 24
	s_waitcnt vmcnt(0)
	v_lshl_add_u64 v[8:9], v[0:1], 0, s[12:13]
	s_and_saveexec_b64 s[12:13], s[0:1]
	s_cbranch_execz .LBB7_119
; %bb.118:
	v_mov_b64_e32 v[10:11], s[6:7]
	v_mov_b32_e32 v12, 2
	v_mov_b32_e32 v13, 1
	global_store_dwordx4 v[8:9], v[10:13], off offset:8
.LBB7_119:
	s_or_b64 exec, exec, s[12:13]
	s_lshl_b64 s[6:7], s[10:11], 12
	v_lshl_add_u64 v[10:11], v[2:3], 0, s[6:7]
	s_movk_i32 s6, 0xff1f
	s_mov_b32 s12, 0
	v_and_or_b32 v4, v4, s6, 32
	v_mov_b32_e32 v6, v29
	v_mov_b32_e32 v7, v29
	v_readfirstlane_b32 s6, v10
	v_readfirstlane_b32 s7, v11
	s_mov_b32 s13, s12
	s_mov_b32 s14, s12
	;; [unrolled: 1-line block ×3, first 2 shown]
	s_nop 1
	global_store_dwordx4 v28, v[4:7], s[6:7]
	v_mov_b64_e32 v[2:3], s[12:13]
	s_nop 0
	v_mov_b64_e32 v[4:5], s[14:15]
	global_store_dwordx4 v28, v[2:5], s[6:7] offset:16
	global_store_dwordx4 v28, v[2:5], s[6:7] offset:32
	;; [unrolled: 1-line block ×3, first 2 shown]
	s_and_saveexec_b64 s[6:7], s[0:1]
	s_cbranch_execz .LBB7_127
; %bb.120:
	v_mov_b32_e32 v6, 0
	global_load_dwordx2 v[14:15], v6, s[2:3] offset:32 sc0 sc1
	global_load_dwordx2 v[2:3], v6, s[2:3] offset:40
	v_mov_b32_e32 v12, s4
	v_mov_b32_e32 v13, s5
	s_waitcnt vmcnt(0)
	v_readfirstlane_b32 s10, v2
	v_readfirstlane_b32 s11, v3
	s_and_b64 s[10:11], s[10:11], s[4:5]
	s_mul_i32 s11, s11, 24
	s_mul_hi_u32 s12, s10, 24
	s_mul_i32 s10, s10, 24
	s_add_i32 s11, s12, s11
	v_lshl_add_u64 v[4:5], v[0:1], 0, s[10:11]
	global_store_dwordx2 v[4:5], v[14:15], off
	buffer_wbl2 sc0 sc1
	s_waitcnt vmcnt(0)
	global_atomic_cmpswap_x2 v[2:3], v6, v[12:15], s[2:3] offset:32 sc0 sc1
	s_waitcnt vmcnt(0)
	v_cmp_ne_u64_e32 vcc, v[2:3], v[14:15]
	s_and_saveexec_b64 s[10:11], vcc
	s_cbranch_execz .LBB7_123
; %bb.121:
	s_mov_b64 s[12:13], 0
.LBB7_122:                              ; =>This Inner Loop Header: Depth=1
	s_sleep 1
	global_store_dwordx2 v[4:5], v[2:3], off
	v_mov_b32_e32 v0, s4
	v_mov_b32_e32 v1, s5
	buffer_wbl2 sc0 sc1
	s_waitcnt vmcnt(0)
	global_atomic_cmpswap_x2 v[0:1], v6, v[0:3], s[2:3] offset:32 sc0 sc1
	s_waitcnt vmcnt(0)
	v_cmp_eq_u64_e32 vcc, v[0:1], v[2:3]
	s_or_b64 s[12:13], vcc, s[12:13]
	v_mov_b64_e32 v[2:3], v[0:1]
	s_andn2_b64 exec, exec, s[12:13]
	s_cbranch_execnz .LBB7_122
.LBB7_123:
	s_or_b64 exec, exec, s[10:11]
	v_mov_b32_e32 v3, 0
	global_load_dwordx2 v[0:1], v3, s[2:3] offset:16
	s_mov_b64 s[10:11], exec
	v_mbcnt_lo_u32_b32 v2, s10, 0
	v_mbcnt_hi_u32_b32 v2, s11, v2
	v_cmp_eq_u32_e32 vcc, 0, v2
	s_and_saveexec_b64 s[12:13], vcc
	s_cbranch_execz .LBB7_125
; %bb.124:
	s_bcnt1_i32_b64 s10, s[10:11]
	v_mov_b32_e32 v2, s10
	buffer_wbl2 sc0 sc1
	s_waitcnt vmcnt(0)
	global_atomic_add_x2 v[0:1], v[2:3], off offset:8 sc1
.LBB7_125:
	s_or_b64 exec, exec, s[12:13]
	s_waitcnt vmcnt(0)
	global_load_dwordx2 v[2:3], v[0:1], off offset:16
	s_waitcnt vmcnt(0)
	v_cmp_eq_u64_e32 vcc, 0, v[2:3]
	s_cbranch_vccnz .LBB7_127
; %bb.126:
	global_load_dword v0, v[0:1], off offset:24
	v_mov_b32_e32 v1, 0
	buffer_wbl2 sc0 sc1
	s_waitcnt vmcnt(0)
	global_store_dwordx2 v[2:3], v[0:1], off sc0 sc1
	v_and_b32_e32 v0, 0xffffff, v0
	s_nop 0
	v_readfirstlane_b32 m0, v0
	s_sendmsg sendmsg(MSG_INTERRUPT)
.LBB7_127:
	s_or_b64 exec, exec, s[6:7]
	v_lshl_add_u64 v[0:1], v[10:11], 0, v[28:29]
	s_branch .LBB7_131
.LBB7_128:                              ;   in Loop: Header=BB7_131 Depth=1
	s_or_b64 exec, exec, s[6:7]
	v_readfirstlane_b32 s6, v2
	s_cmp_eq_u32 s6, 0
	s_cbranch_scc1 .LBB7_130
; %bb.129:                              ;   in Loop: Header=BB7_131 Depth=1
	s_sleep 1
	s_cbranch_execnz .LBB7_131
	s_branch .LBB7_133
.LBB7_130:
	s_branch .LBB7_133
.LBB7_131:                              ; =>This Inner Loop Header: Depth=1
	v_mov_b32_e32 v2, 1
	s_and_saveexec_b64 s[6:7], s[0:1]
	s_cbranch_execz .LBB7_128
; %bb.132:                              ;   in Loop: Header=BB7_131 Depth=1
	global_load_dword v2, v[8:9], off offset:20 sc0 sc1
	s_waitcnt vmcnt(0)
	buffer_inv sc0 sc1
	v_and_b32_e32 v2, 1, v2
	s_branch .LBB7_128
.LBB7_133:
	global_load_dwordx2 v[0:1], v[0:1], off
	s_and_saveexec_b64 s[6:7], s[0:1]
	s_cbranch_execz .LBB7_136
; %bb.134:
	v_mov_b32_e32 v8, 0
	global_load_dwordx2 v[6:7], v8, s[2:3] offset:40
	global_load_dwordx2 v[10:11], v8, s[2:3] offset:24 sc0 sc1
	global_load_dwordx2 v[12:13], v8, s[2:3]
	s_mov_b64 s[0:1], 0
	s_waitcnt vmcnt(2)
	v_lshl_add_u64 v[2:3], v[6:7], 0, 1
	v_lshl_add_u64 v[14:15], v[2:3], 0, s[4:5]
	v_cmp_eq_u64_e32 vcc, 0, v[14:15]
	s_waitcnt vmcnt(1)
	v_mov_b32_e32 v4, v10
	v_cndmask_b32_e32 v3, v15, v3, vcc
	v_cndmask_b32_e32 v2, v14, v2, vcc
	v_and_b32_e32 v5, v3, v7
	v_and_b32_e32 v6, v2, v6
	v_mul_lo_u32 v5, v5, 24
	v_mul_hi_u32 v7, v6, 24
	v_mul_lo_u32 v6, v6, 24
	v_add_u32_e32 v7, v7, v5
	s_waitcnt vmcnt(0)
	v_lshl_add_u64 v[6:7], v[12:13], 0, v[6:7]
	global_store_dwordx2 v[6:7], v[10:11], off
	v_mov_b32_e32 v5, v11
	buffer_wbl2 sc0 sc1
	s_waitcnt vmcnt(0)
	global_atomic_cmpswap_x2 v[4:5], v8, v[2:5], s[2:3] offset:24 sc0 sc1
	s_waitcnt vmcnt(0)
	v_cmp_ne_u64_e32 vcc, v[4:5], v[10:11]
	s_and_b64 exec, exec, vcc
	s_cbranch_execz .LBB7_136
.LBB7_135:                              ; =>This Inner Loop Header: Depth=1
	s_sleep 1
	global_store_dwordx2 v[6:7], v[4:5], off
	buffer_wbl2 sc0 sc1
	s_waitcnt vmcnt(0)
	global_atomic_cmpswap_x2 v[10:11], v8, v[2:5], s[2:3] offset:24 sc0 sc1
	s_waitcnt vmcnt(0)
	v_cmp_eq_u64_e32 vcc, v[10:11], v[4:5]
	s_or_b64 s[0:1], vcc, s[0:1]
	v_mov_b64_e32 v[4:5], v[10:11]
	s_andn2_b64 exec, exec, s[0:1]
	s_cbranch_execnz .LBB7_135
.LBB7_136:
	s_or_b64 exec, exec, s[6:7]
.LBB7_137:
	s_getpc_b64 s[4:5]
	s_add_u32 s4, s4, .str.1@rel32@lo+4
	s_addc_u32 s5, s5, .str.1@rel32@hi+12
	s_cmp_lg_u64 s[4:5], 0
	s_cselect_b64 s[0:1], -1, 0
	s_cmp_eq_u64 s[4:5], 0
	s_mov_b64 s[4:5], 0
	s_cbranch_scc1 .LBB7_141
; %bb.138:
	s_waitcnt vmcnt(0)
	v_mov_b32_e32 v2, 0
	s_getpc_b64 s[4:5]
	s_add_u32 s4, s4, .str.1@rel32@lo+3
	s_addc_u32 s5, s5, .str.1@rel32@hi+11
.LBB7_139:                              ; =>This Inner Loop Header: Depth=1
	global_load_ubyte v3, v2, s[4:5] offset:1
	s_add_u32 s6, s4, 1
	s_addc_u32 s7, s5, 0
	s_mov_b64 s[4:5], s[6:7]
	s_waitcnt vmcnt(0)
	v_cmp_ne_u16_e32 vcc, 0, v3
	s_cbranch_vccnz .LBB7_139
; %bb.140:
	s_getpc_b64 s[4:5]
	s_add_u32 s4, s4, .str.1@rel32@lo+4
	s_addc_u32 s5, s5, .str.1@rel32@hi+12
	s_sub_u32 s4, s6, s4
	s_subb_u32 s5, s7, s5
	s_add_u32 s4, s4, 1
	s_addc_u32 s5, s5, 0
.LBB7_141:
	s_and_b64 vcc, exec, s[0:1]
	s_cbranch_vccz .LBB7_225
; %bb.142:
	s_waitcnt vmcnt(0)
	v_and_b32_e32 v30, 2, v0
	v_mov_b32_e32 v33, 0
	v_and_b32_e32 v2, -3, v0
	v_mov_b32_e32 v3, v1
	v_mov_b32_e32 v6, 2
	;; [unrolled: 1-line block ×3, first 2 shown]
	s_getpc_b64 s[6:7]
	s_add_u32 s6, s6, .str.1@rel32@lo+4
	s_addc_u32 s7, s7, .str.1@rel32@hi+12
	s_branch .LBB7_144
.LBB7_143:                              ;   in Loop: Header=BB7_144 Depth=1
	s_or_b64 exec, exec, s[14:15]
	s_sub_u32 s4, s4, s10
	s_subb_u32 s5, s5, s11
	s_add_u32 s6, s6, s10
	s_addc_u32 s7, s7, s11
	s_cmp_lg_u64 s[4:5], 0
	s_cbranch_scc0 .LBB7_226
.LBB7_144:                              ; =>This Loop Header: Depth=1
                                        ;     Child Loop BB7_147 Depth 2
                                        ;     Child Loop BB7_154 Depth 2
	;; [unrolled: 1-line block ×11, first 2 shown]
	v_cmp_lt_u64_e64 s[0:1], s[4:5], 56
	s_and_b64 s[0:1], s[0:1], exec
	v_cmp_gt_u64_e64 s[0:1], s[4:5], 7
	s_cselect_b32 s11, s5, 0
	s_cselect_b32 s10, s4, 56
	s_and_b64 vcc, exec, s[0:1]
	s_cbranch_vccnz .LBB7_149
; %bb.145:                              ;   in Loop: Header=BB7_144 Depth=1
	s_mov_b64 s[0:1], 0
	s_cmp_eq_u64 s[4:5], 0
	v_mov_b64_e32 v[10:11], 0
	s_cbranch_scc1 .LBB7_148
; %bb.146:                              ;   in Loop: Header=BB7_144 Depth=1
	s_lshl_b64 s[12:13], s[10:11], 3
	s_mov_b64 s[14:15], 0
	v_mov_b64_e32 v[10:11], 0
	s_mov_b64 s[16:17], s[6:7]
.LBB7_147:                              ;   Parent Loop BB7_144 Depth=1
                                        ; =>  This Inner Loop Header: Depth=2
	global_load_ubyte v4, v33, s[16:17]
	s_waitcnt vmcnt(0)
	v_and_b32_e32 v32, 0xffff, v4
	v_lshlrev_b64 v[4:5], s14, v[32:33]
	s_add_u32 s14, s14, 8
	s_addc_u32 s15, s15, 0
	s_add_u32 s16, s16, 1
	s_addc_u32 s17, s17, 0
	v_or_b32_e32 v10, v4, v10
	s_cmp_lg_u32 s12, s14
	v_or_b32_e32 v11, v5, v11
	s_cbranch_scc1 .LBB7_147
.LBB7_148:                              ;   in Loop: Header=BB7_144 Depth=1
	s_mov_b32 s16, 0
	s_andn2_b64 vcc, exec, s[0:1]
	s_mov_b64 s[0:1], s[6:7]
	s_cbranch_vccz .LBB7_150
	s_branch .LBB7_151
.LBB7_149:                              ;   in Loop: Header=BB7_144 Depth=1
                                        ; implicit-def: $vgpr10_vgpr11
                                        ; implicit-def: $sgpr16
	s_mov_b64 s[0:1], s[6:7]
.LBB7_150:                              ;   in Loop: Header=BB7_144 Depth=1
	global_load_dwordx2 v[10:11], v33, s[6:7]
	s_add_i32 s16, s10, -8
	s_add_u32 s0, s6, 8
	s_addc_u32 s1, s7, 0
.LBB7_151:                              ;   in Loop: Header=BB7_144 Depth=1
	s_cmp_gt_u32 s16, 7
	s_cbranch_scc1 .LBB7_155
; %bb.152:                              ;   in Loop: Header=BB7_144 Depth=1
	s_cmp_eq_u32 s16, 0
	s_cbranch_scc1 .LBB7_156
; %bb.153:                              ;   in Loop: Header=BB7_144 Depth=1
	s_mov_b64 s[12:13], 0
	v_mov_b64_e32 v[12:13], 0
	s_mov_b64 s[14:15], 0
.LBB7_154:                              ;   Parent Loop BB7_144 Depth=1
                                        ; =>  This Inner Loop Header: Depth=2
	s_add_u32 s18, s0, s14
	s_addc_u32 s19, s1, s15
	global_load_ubyte v4, v33, s[18:19]
	s_add_u32 s14, s14, 1
	s_addc_u32 s15, s15, 0
	s_waitcnt vmcnt(0)
	v_and_b32_e32 v32, 0xffff, v4
	v_lshlrev_b64 v[4:5], s12, v[32:33]
	s_add_u32 s12, s12, 8
	s_addc_u32 s13, s13, 0
	v_or_b32_e32 v12, v4, v12
	s_cmp_lg_u32 s16, s14
	v_or_b32_e32 v13, v5, v13
	s_cbranch_scc1 .LBB7_154
	s_branch .LBB7_157
.LBB7_155:                              ;   in Loop: Header=BB7_144 Depth=1
                                        ; implicit-def: $vgpr12_vgpr13
                                        ; implicit-def: $sgpr17
	s_branch .LBB7_158
.LBB7_156:                              ;   in Loop: Header=BB7_144 Depth=1
	v_mov_b64_e32 v[12:13], 0
.LBB7_157:                              ;   in Loop: Header=BB7_144 Depth=1
	s_mov_b32 s17, 0
	s_cbranch_execnz .LBB7_159
.LBB7_158:                              ;   in Loop: Header=BB7_144 Depth=1
	global_load_dwordx2 v[12:13], v33, s[0:1]
	s_add_i32 s17, s16, -8
	s_add_u32 s0, s0, 8
	s_addc_u32 s1, s1, 0
.LBB7_159:                              ;   in Loop: Header=BB7_144 Depth=1
	s_cmp_gt_u32 s17, 7
	s_cbranch_scc1 .LBB7_163
; %bb.160:                              ;   in Loop: Header=BB7_144 Depth=1
	s_cmp_eq_u32 s17, 0
	s_cbranch_scc1 .LBB7_164
; %bb.161:                              ;   in Loop: Header=BB7_144 Depth=1
	s_mov_b64 s[12:13], 0
	v_mov_b64_e32 v[14:15], 0
	s_mov_b64 s[14:15], 0
.LBB7_162:                              ;   Parent Loop BB7_144 Depth=1
                                        ; =>  This Inner Loop Header: Depth=2
	s_add_u32 s18, s0, s14
	s_addc_u32 s19, s1, s15
	global_load_ubyte v4, v33, s[18:19]
	s_add_u32 s14, s14, 1
	s_addc_u32 s15, s15, 0
	s_waitcnt vmcnt(0)
	v_and_b32_e32 v32, 0xffff, v4
	v_lshlrev_b64 v[4:5], s12, v[32:33]
	s_add_u32 s12, s12, 8
	s_addc_u32 s13, s13, 0
	v_or_b32_e32 v14, v4, v14
	s_cmp_lg_u32 s17, s14
	v_or_b32_e32 v15, v5, v15
	s_cbranch_scc1 .LBB7_162
	s_branch .LBB7_165
.LBB7_163:                              ;   in Loop: Header=BB7_144 Depth=1
                                        ; implicit-def: $sgpr16
	s_branch .LBB7_166
.LBB7_164:                              ;   in Loop: Header=BB7_144 Depth=1
	v_mov_b64_e32 v[14:15], 0
.LBB7_165:                              ;   in Loop: Header=BB7_144 Depth=1
	s_mov_b32 s16, 0
	s_cbranch_execnz .LBB7_167
.LBB7_166:                              ;   in Loop: Header=BB7_144 Depth=1
	global_load_dwordx2 v[14:15], v33, s[0:1]
	s_add_i32 s16, s17, -8
	s_add_u32 s0, s0, 8
	s_addc_u32 s1, s1, 0
.LBB7_167:                              ;   in Loop: Header=BB7_144 Depth=1
	s_cmp_gt_u32 s16, 7
	s_cbranch_scc1 .LBB7_171
; %bb.168:                              ;   in Loop: Header=BB7_144 Depth=1
	s_cmp_eq_u32 s16, 0
	s_cbranch_scc1 .LBB7_172
; %bb.169:                              ;   in Loop: Header=BB7_144 Depth=1
	s_mov_b64 s[12:13], 0
	v_mov_b64_e32 v[16:17], 0
	s_mov_b64 s[14:15], 0
.LBB7_170:                              ;   Parent Loop BB7_144 Depth=1
                                        ; =>  This Inner Loop Header: Depth=2
	s_add_u32 s18, s0, s14
	s_addc_u32 s19, s1, s15
	global_load_ubyte v4, v33, s[18:19]
	s_add_u32 s14, s14, 1
	s_addc_u32 s15, s15, 0
	s_waitcnt vmcnt(0)
	v_and_b32_e32 v32, 0xffff, v4
	v_lshlrev_b64 v[4:5], s12, v[32:33]
	s_add_u32 s12, s12, 8
	s_addc_u32 s13, s13, 0
	v_or_b32_e32 v16, v4, v16
	s_cmp_lg_u32 s16, s14
	v_or_b32_e32 v17, v5, v17
	s_cbranch_scc1 .LBB7_170
	s_branch .LBB7_173
.LBB7_171:                              ;   in Loop: Header=BB7_144 Depth=1
                                        ; implicit-def: $vgpr16_vgpr17
                                        ; implicit-def: $sgpr17
	s_branch .LBB7_174
.LBB7_172:                              ;   in Loop: Header=BB7_144 Depth=1
	v_mov_b64_e32 v[16:17], 0
.LBB7_173:                              ;   in Loop: Header=BB7_144 Depth=1
	s_mov_b32 s17, 0
	s_cbranch_execnz .LBB7_175
.LBB7_174:                              ;   in Loop: Header=BB7_144 Depth=1
	global_load_dwordx2 v[16:17], v33, s[0:1]
	s_add_i32 s17, s16, -8
	s_add_u32 s0, s0, 8
	s_addc_u32 s1, s1, 0
.LBB7_175:                              ;   in Loop: Header=BB7_144 Depth=1
	s_cmp_gt_u32 s17, 7
	s_cbranch_scc1 .LBB7_179
; %bb.176:                              ;   in Loop: Header=BB7_144 Depth=1
	s_cmp_eq_u32 s17, 0
	s_cbranch_scc1 .LBB7_180
; %bb.177:                              ;   in Loop: Header=BB7_144 Depth=1
	s_mov_b64 s[12:13], 0
	v_mov_b64_e32 v[18:19], 0
	s_mov_b64 s[14:15], 0
.LBB7_178:                              ;   Parent Loop BB7_144 Depth=1
                                        ; =>  This Inner Loop Header: Depth=2
	s_add_u32 s18, s0, s14
	s_addc_u32 s19, s1, s15
	global_load_ubyte v4, v33, s[18:19]
	s_add_u32 s14, s14, 1
	s_addc_u32 s15, s15, 0
	s_waitcnt vmcnt(0)
	v_and_b32_e32 v32, 0xffff, v4
	v_lshlrev_b64 v[4:5], s12, v[32:33]
	s_add_u32 s12, s12, 8
	s_addc_u32 s13, s13, 0
	v_or_b32_e32 v18, v4, v18
	s_cmp_lg_u32 s17, s14
	v_or_b32_e32 v19, v5, v19
	s_cbranch_scc1 .LBB7_178
	s_branch .LBB7_181
.LBB7_179:                              ;   in Loop: Header=BB7_144 Depth=1
                                        ; implicit-def: $sgpr16
	s_branch .LBB7_182
.LBB7_180:                              ;   in Loop: Header=BB7_144 Depth=1
	v_mov_b64_e32 v[18:19], 0
.LBB7_181:                              ;   in Loop: Header=BB7_144 Depth=1
	s_mov_b32 s16, 0
	s_cbranch_execnz .LBB7_183
.LBB7_182:                              ;   in Loop: Header=BB7_144 Depth=1
	global_load_dwordx2 v[18:19], v33, s[0:1]
	s_add_i32 s16, s17, -8
	s_add_u32 s0, s0, 8
	s_addc_u32 s1, s1, 0
.LBB7_183:                              ;   in Loop: Header=BB7_144 Depth=1
	s_cmp_gt_u32 s16, 7
	s_cbranch_scc1 .LBB7_187
; %bb.184:                              ;   in Loop: Header=BB7_144 Depth=1
	s_cmp_eq_u32 s16, 0
	s_cbranch_scc1 .LBB7_188
; %bb.185:                              ;   in Loop: Header=BB7_144 Depth=1
	s_mov_b64 s[12:13], 0
	v_mov_b64_e32 v[20:21], 0
	s_mov_b64 s[14:15], 0
.LBB7_186:                              ;   Parent Loop BB7_144 Depth=1
                                        ; =>  This Inner Loop Header: Depth=2
	s_add_u32 s18, s0, s14
	s_addc_u32 s19, s1, s15
	global_load_ubyte v4, v33, s[18:19]
	s_add_u32 s14, s14, 1
	s_addc_u32 s15, s15, 0
	s_waitcnt vmcnt(0)
	v_and_b32_e32 v32, 0xffff, v4
	v_lshlrev_b64 v[4:5], s12, v[32:33]
	s_add_u32 s12, s12, 8
	s_addc_u32 s13, s13, 0
	v_or_b32_e32 v20, v4, v20
	s_cmp_lg_u32 s16, s14
	v_or_b32_e32 v21, v5, v21
	s_cbranch_scc1 .LBB7_186
	s_branch .LBB7_189
.LBB7_187:                              ;   in Loop: Header=BB7_144 Depth=1
                                        ; implicit-def: $vgpr20_vgpr21
                                        ; implicit-def: $sgpr17
	s_branch .LBB7_190
.LBB7_188:                              ;   in Loop: Header=BB7_144 Depth=1
	v_mov_b64_e32 v[20:21], 0
.LBB7_189:                              ;   in Loop: Header=BB7_144 Depth=1
	s_mov_b32 s17, 0
	s_cbranch_execnz .LBB7_191
.LBB7_190:                              ;   in Loop: Header=BB7_144 Depth=1
	global_load_dwordx2 v[20:21], v33, s[0:1]
	s_add_i32 s17, s16, -8
	s_add_u32 s0, s0, 8
	s_addc_u32 s1, s1, 0
.LBB7_191:                              ;   in Loop: Header=BB7_144 Depth=1
	s_cmp_gt_u32 s17, 7
	s_cbranch_scc1 .LBB7_195
; %bb.192:                              ;   in Loop: Header=BB7_144 Depth=1
	s_cmp_eq_u32 s17, 0
	s_cbranch_scc1 .LBB7_196
; %bb.193:                              ;   in Loop: Header=BB7_144 Depth=1
	s_mov_b64 s[12:13], 0
	v_mov_b64_e32 v[22:23], 0
	s_mov_b64 s[14:15], s[0:1]
.LBB7_194:                              ;   Parent Loop BB7_144 Depth=1
                                        ; =>  This Inner Loop Header: Depth=2
	global_load_ubyte v4, v33, s[14:15]
	s_add_i32 s17, s17, -1
	s_waitcnt vmcnt(0)
	v_and_b32_e32 v32, 0xffff, v4
	v_lshlrev_b64 v[4:5], s12, v[32:33]
	s_add_u32 s12, s12, 8
	s_addc_u32 s13, s13, 0
	s_add_u32 s14, s14, 1
	s_addc_u32 s15, s15, 0
	v_or_b32_e32 v22, v4, v22
	s_cmp_lg_u32 s17, 0
	v_or_b32_e32 v23, v5, v23
	s_cbranch_scc1 .LBB7_194
	s_branch .LBB7_197
.LBB7_195:                              ;   in Loop: Header=BB7_144 Depth=1
	s_branch .LBB7_198
.LBB7_196:                              ;   in Loop: Header=BB7_144 Depth=1
	v_mov_b64_e32 v[22:23], 0
.LBB7_197:                              ;   in Loop: Header=BB7_144 Depth=1
	s_cbranch_execnz .LBB7_199
.LBB7_198:                              ;   in Loop: Header=BB7_144 Depth=1
	global_load_dwordx2 v[22:23], v33, s[0:1]
.LBB7_199:                              ;   in Loop: Header=BB7_144 Depth=1
	v_readfirstlane_b32 s0, v36
	s_waitcnt vmcnt(0)
	v_mov_b64_e32 v[4:5], 0
	v_cmp_eq_u32_e64 s[0:1], s0, v36
	s_and_saveexec_b64 s[12:13], s[0:1]
	s_cbranch_execz .LBB7_205
; %bb.200:                              ;   in Loop: Header=BB7_144 Depth=1
	global_load_dwordx2 v[26:27], v33, s[2:3] offset:24 sc0 sc1
	s_waitcnt vmcnt(0)
	buffer_inv sc0 sc1
	global_load_dwordx2 v[4:5], v33, s[2:3] offset:40
	global_load_dwordx2 v[8:9], v33, s[2:3]
	s_waitcnt vmcnt(1)
	v_and_b32_e32 v4, v4, v26
	v_and_b32_e32 v5, v5, v27
	v_mul_lo_u32 v5, v5, 24
	v_mul_hi_u32 v24, v4, 24
	v_add_u32_e32 v5, v24, v5
	v_mul_lo_u32 v4, v4, 24
	s_waitcnt vmcnt(0)
	v_lshl_add_u64 v[4:5], v[8:9], 0, v[4:5]
	global_load_dwordx2 v[24:25], v[4:5], off sc0 sc1
	s_waitcnt vmcnt(0)
	global_atomic_cmpswap_x2 v[4:5], v33, v[24:27], s[2:3] offset:24 sc0 sc1
	s_waitcnt vmcnt(0)
	buffer_inv sc0 sc1
	v_cmp_ne_u64_e32 vcc, v[4:5], v[26:27]
	s_and_saveexec_b64 s[14:15], vcc
	s_cbranch_execz .LBB7_204
; %bb.201:                              ;   in Loop: Header=BB7_144 Depth=1
	s_mov_b64 s[16:17], 0
.LBB7_202:                              ;   Parent Loop BB7_144 Depth=1
                                        ; =>  This Inner Loop Header: Depth=2
	s_sleep 1
	global_load_dwordx2 v[8:9], v33, s[2:3] offset:40
	global_load_dwordx2 v[24:25], v33, s[2:3]
	v_mov_b64_e32 v[26:27], v[4:5]
	s_waitcnt vmcnt(1)
	v_and_b32_e32 v4, v8, v26
	s_waitcnt vmcnt(0)
	v_mad_u64_u32 v[4:5], s[18:19], v4, 24, v[24:25]
	v_and_b32_e32 v9, v9, v27
	v_mov_b32_e32 v8, v5
	v_mad_u64_u32 v[8:9], s[18:19], v9, 24, v[8:9]
	v_mov_b32_e32 v5, v8
	global_load_dwordx2 v[24:25], v[4:5], off sc0 sc1
	s_waitcnt vmcnt(0)
	global_atomic_cmpswap_x2 v[4:5], v33, v[24:27], s[2:3] offset:24 sc0 sc1
	s_waitcnt vmcnt(0)
	buffer_inv sc0 sc1
	v_cmp_eq_u64_e32 vcc, v[4:5], v[26:27]
	s_or_b64 s[16:17], vcc, s[16:17]
	s_andn2_b64 exec, exec, s[16:17]
	s_cbranch_execnz .LBB7_202
; %bb.203:                              ;   in Loop: Header=BB7_144 Depth=1
	s_or_b64 exec, exec, s[16:17]
.LBB7_204:                              ;   in Loop: Header=BB7_144 Depth=1
	s_or_b64 exec, exec, s[14:15]
.LBB7_205:                              ;   in Loop: Header=BB7_144 Depth=1
	s_or_b64 exec, exec, s[12:13]
	global_load_dwordx2 v[8:9], v33, s[2:3] offset:40
	global_load_dwordx4 v[24:27], v33, s[2:3]
	v_readfirstlane_b32 s12, v4
	v_readfirstlane_b32 s13, v5
	s_mov_b64 s[14:15], exec
	s_waitcnt vmcnt(1)
	v_readfirstlane_b32 s16, v8
	v_readfirstlane_b32 s17, v9
	s_and_b64 s[16:17], s[12:13], s[16:17]
	s_mul_i32 s18, s17, 24
	s_mul_hi_u32 s19, s16, 24
	s_add_i32 s19, s19, s18
	s_mul_i32 s18, s16, 24
	s_waitcnt vmcnt(0)
	v_lshl_add_u64 v[34:35], v[24:25], 0, s[18:19]
	s_and_saveexec_b64 s[18:19], s[0:1]
	s_cbranch_execz .LBB7_207
; %bb.206:                              ;   in Loop: Header=BB7_144 Depth=1
	v_mov_b64_e32 v[4:5], s[14:15]
	global_store_dwordx4 v[34:35], v[4:7], off offset:8
.LBB7_207:                              ;   in Loop: Header=BB7_144 Depth=1
	s_or_b64 exec, exec, s[18:19]
	s_lshl_b64 s[14:15], s[16:17], 12
	v_lshl_add_u64 v[26:27], v[26:27], 0, s[14:15]
	v_or_b32_e32 v5, v2, v30
	v_cmp_gt_u64_e64 vcc, s[4:5], 56
	s_lshl_b32 s14, s10, 2
	s_add_i32 s14, s14, 28
	v_cndmask_b32_e32 v2, v5, v2, vcc
	v_or_b32_e32 v4, 0, v3
	s_and_b32 s14, s14, 0x1e0
	v_and_b32_e32 v2, 0xffffff1f, v2
	v_cndmask_b32_e32 v9, v4, v3, vcc
	v_or_b32_e32 v8, s14, v2
	v_readfirstlane_b32 s14, v26
	v_readfirstlane_b32 s15, v27
	s_nop 4
	global_store_dwordx4 v28, v[8:11], s[14:15]
	global_store_dwordx4 v28, v[12:15], s[14:15] offset:16
	global_store_dwordx4 v28, v[16:19], s[14:15] offset:32
	;; [unrolled: 1-line block ×3, first 2 shown]
	s_and_saveexec_b64 s[14:15], s[0:1]
	s_cbranch_execz .LBB7_215
; %bb.208:                              ;   in Loop: Header=BB7_144 Depth=1
	global_load_dwordx2 v[12:13], v33, s[2:3] offset:32 sc0 sc1
	global_load_dwordx2 v[2:3], v33, s[2:3] offset:40
	v_mov_b32_e32 v10, s12
	v_mov_b32_e32 v11, s13
	s_waitcnt vmcnt(0)
	v_readfirstlane_b32 s16, v2
	v_readfirstlane_b32 s17, v3
	s_and_b64 s[16:17], s[16:17], s[12:13]
	s_mul_i32 s17, s17, 24
	s_mul_hi_u32 s18, s16, 24
	s_mul_i32 s16, s16, 24
	s_add_i32 s17, s18, s17
	v_lshl_add_u64 v[8:9], v[24:25], 0, s[16:17]
	global_store_dwordx2 v[8:9], v[12:13], off
	buffer_wbl2 sc0 sc1
	s_waitcnt vmcnt(0)
	global_atomic_cmpswap_x2 v[4:5], v33, v[10:13], s[2:3] offset:32 sc0 sc1
	s_waitcnt vmcnt(0)
	v_cmp_ne_u64_e32 vcc, v[4:5], v[12:13]
	s_and_saveexec_b64 s[16:17], vcc
	s_cbranch_execz .LBB7_211
; %bb.209:                              ;   in Loop: Header=BB7_144 Depth=1
	s_mov_b64 s[18:19], 0
.LBB7_210:                              ;   Parent Loop BB7_144 Depth=1
                                        ; =>  This Inner Loop Header: Depth=2
	s_sleep 1
	global_store_dwordx2 v[8:9], v[4:5], off
	v_mov_b32_e32 v2, s12
	v_mov_b32_e32 v3, s13
	buffer_wbl2 sc0 sc1
	s_waitcnt vmcnt(0)
	global_atomic_cmpswap_x2 v[2:3], v33, v[2:5], s[2:3] offset:32 sc0 sc1
	s_waitcnt vmcnt(0)
	v_cmp_eq_u64_e32 vcc, v[2:3], v[4:5]
	s_or_b64 s[18:19], vcc, s[18:19]
	v_mov_b64_e32 v[4:5], v[2:3]
	s_andn2_b64 exec, exec, s[18:19]
	s_cbranch_execnz .LBB7_210
.LBB7_211:                              ;   in Loop: Header=BB7_144 Depth=1
	s_or_b64 exec, exec, s[16:17]
	global_load_dwordx2 v[2:3], v33, s[2:3] offset:16
	s_mov_b64 s[18:19], exec
	v_mbcnt_lo_u32_b32 v4, s18, 0
	v_mbcnt_hi_u32_b32 v4, s19, v4
	v_cmp_eq_u32_e32 vcc, 0, v4
	s_and_saveexec_b64 s[16:17], vcc
	s_cbranch_execz .LBB7_213
; %bb.212:                              ;   in Loop: Header=BB7_144 Depth=1
	s_bcnt1_i32_b64 s18, s[18:19]
	v_mov_b32_e32 v32, s18
	buffer_wbl2 sc0 sc1
	s_waitcnt vmcnt(0)
	global_atomic_add_x2 v[2:3], v[32:33], off offset:8 sc1
.LBB7_213:                              ;   in Loop: Header=BB7_144 Depth=1
	s_or_b64 exec, exec, s[16:17]
	s_waitcnt vmcnt(0)
	global_load_dwordx2 v[4:5], v[2:3], off offset:16
	s_waitcnt vmcnt(0)
	v_cmp_eq_u64_e32 vcc, 0, v[4:5]
	s_cbranch_vccnz .LBB7_215
; %bb.214:                              ;   in Loop: Header=BB7_144 Depth=1
	global_load_dword v32, v[2:3], off offset:24
	s_waitcnt vmcnt(0)
	v_and_b32_e32 v2, 0xffffff, v32
	s_nop 0
	v_readfirstlane_b32 m0, v2
	buffer_wbl2 sc0 sc1
	global_store_dwordx2 v[4:5], v[32:33], off sc0 sc1
	s_sendmsg sendmsg(MSG_INTERRUPT)
.LBB7_215:                              ;   in Loop: Header=BB7_144 Depth=1
	s_or_b64 exec, exec, s[14:15]
	v_mov_b32_e32 v29, v33
	v_lshl_add_u64 v[2:3], v[26:27], 0, v[28:29]
	s_branch .LBB7_219
.LBB7_216:                              ;   in Loop: Header=BB7_219 Depth=2
	s_or_b64 exec, exec, s[14:15]
	v_readfirstlane_b32 s14, v4
	s_cmp_eq_u32 s14, 0
	s_cbranch_scc1 .LBB7_218
; %bb.217:                              ;   in Loop: Header=BB7_219 Depth=2
	s_sleep 1
	s_cbranch_execnz .LBB7_219
	s_branch .LBB7_221
.LBB7_218:                              ;   in Loop: Header=BB7_144 Depth=1
	s_branch .LBB7_221
.LBB7_219:                              ;   Parent Loop BB7_144 Depth=1
                                        ; =>  This Inner Loop Header: Depth=2
	v_mov_b32_e32 v4, 1
	s_and_saveexec_b64 s[14:15], s[0:1]
	s_cbranch_execz .LBB7_216
; %bb.220:                              ;   in Loop: Header=BB7_219 Depth=2
	global_load_dword v4, v[34:35], off offset:20 sc0 sc1
	s_waitcnt vmcnt(0)
	buffer_inv sc0 sc1
	v_and_b32_e32 v4, 1, v4
	s_branch .LBB7_216
.LBB7_221:                              ;   in Loop: Header=BB7_144 Depth=1
	global_load_dwordx4 v[2:5], v[2:3], off
	s_and_saveexec_b64 s[14:15], s[0:1]
	s_cbranch_execz .LBB7_143
; %bb.222:                              ;   in Loop: Header=BB7_144 Depth=1
	global_load_dwordx2 v[4:5], v33, s[2:3] offset:40
	global_load_dwordx2 v[12:13], v33, s[2:3] offset:24 sc0 sc1
	global_load_dwordx2 v[14:15], v33, s[2:3]
	s_waitcnt vmcnt(2)
	v_lshl_add_u64 v[8:9], v[4:5], 0, 1
	v_lshl_add_u64 v[16:17], v[8:9], 0, s[12:13]
	v_cmp_eq_u64_e32 vcc, 0, v[16:17]
	s_waitcnt vmcnt(1)
	v_mov_b32_e32 v10, v12
	v_cndmask_b32_e32 v9, v17, v9, vcc
	v_cndmask_b32_e32 v8, v16, v8, vcc
	v_and_b32_e32 v5, v9, v5
	v_and_b32_e32 v4, v8, v4
	v_mul_lo_u32 v5, v5, 24
	v_mul_hi_u32 v11, v4, 24
	v_mul_lo_u32 v4, v4, 24
	v_add_u32_e32 v5, v11, v5
	s_waitcnt vmcnt(0)
	v_lshl_add_u64 v[4:5], v[14:15], 0, v[4:5]
	global_store_dwordx2 v[4:5], v[12:13], off
	v_mov_b32_e32 v11, v13
	buffer_wbl2 sc0 sc1
	s_waitcnt vmcnt(0)
	global_atomic_cmpswap_x2 v[10:11], v33, v[8:11], s[2:3] offset:24 sc0 sc1
	s_waitcnt vmcnt(0)
	v_cmp_ne_u64_e32 vcc, v[10:11], v[12:13]
	s_and_b64 exec, exec, vcc
	s_cbranch_execz .LBB7_143
; %bb.223:                              ;   in Loop: Header=BB7_144 Depth=1
	s_mov_b64 s[0:1], 0
.LBB7_224:                              ;   Parent Loop BB7_144 Depth=1
                                        ; =>  This Inner Loop Header: Depth=2
	s_sleep 1
	global_store_dwordx2 v[4:5], v[10:11], off
	buffer_wbl2 sc0 sc1
	s_waitcnt vmcnt(0)
	global_atomic_cmpswap_x2 v[12:13], v33, v[8:11], s[2:3] offset:24 sc0 sc1
	s_waitcnt vmcnt(0)
	v_cmp_eq_u64_e32 vcc, v[12:13], v[10:11]
	s_or_b64 s[0:1], vcc, s[0:1]
	v_mov_b64_e32 v[10:11], v[12:13]
	s_andn2_b64 exec, exec, s[0:1]
	s_cbranch_execnz .LBB7_224
	s_branch .LBB7_143
.LBB7_225:
                                        ; implicit-def: $vgpr2_vgpr3
	s_cbranch_execnz .LBB7_227
	s_branch .LBB7_253
.LBB7_226:
	s_branch .LBB7_253
.LBB7_227:
	v_readfirstlane_b32 s0, v36
	s_waitcnt vmcnt(0)
	v_mov_b64_e32 v[2:3], 0
	v_cmp_eq_u32_e64 s[0:1], s0, v36
	s_and_saveexec_b64 s[4:5], s[0:1]
	s_cbranch_execz .LBB7_233
; %bb.228:
	v_mov_b32_e32 v4, 0
	global_load_dwordx2 v[8:9], v4, s[2:3] offset:24 sc0 sc1
	s_waitcnt vmcnt(0)
	buffer_inv sc0 sc1
	global_load_dwordx2 v[2:3], v4, s[2:3] offset:40
	global_load_dwordx2 v[6:7], v4, s[2:3]
	s_waitcnt vmcnt(1)
	v_and_b32_e32 v2, v2, v8
	v_and_b32_e32 v3, v3, v9
	v_mul_lo_u32 v3, v3, 24
	v_mul_hi_u32 v5, v2, 24
	v_add_u32_e32 v3, v5, v3
	v_mul_lo_u32 v2, v2, 24
	s_waitcnt vmcnt(0)
	v_lshl_add_u64 v[2:3], v[6:7], 0, v[2:3]
	global_load_dwordx2 v[6:7], v[2:3], off sc0 sc1
	s_waitcnt vmcnt(0)
	global_atomic_cmpswap_x2 v[2:3], v4, v[6:9], s[2:3] offset:24 sc0 sc1
	s_waitcnt vmcnt(0)
	buffer_inv sc0 sc1
	v_cmp_ne_u64_e32 vcc, v[2:3], v[8:9]
	s_and_saveexec_b64 s[6:7], vcc
	s_cbranch_execz .LBB7_232
; %bb.229:
	s_mov_b64 s[10:11], 0
.LBB7_230:                              ; =>This Inner Loop Header: Depth=1
	s_sleep 1
	global_load_dwordx2 v[6:7], v4, s[2:3] offset:40
	global_load_dwordx2 v[10:11], v4, s[2:3]
	v_mov_b64_e32 v[8:9], v[2:3]
	s_waitcnt vmcnt(1)
	v_and_b32_e32 v2, v6, v8
	s_waitcnt vmcnt(0)
	v_mad_u64_u32 v[2:3], s[12:13], v2, 24, v[10:11]
	v_and_b32_e32 v5, v7, v9
	v_mov_b32_e32 v6, v3
	v_mad_u64_u32 v[6:7], s[12:13], v5, 24, v[6:7]
	v_mov_b32_e32 v3, v6
	global_load_dwordx2 v[6:7], v[2:3], off sc0 sc1
	s_waitcnt vmcnt(0)
	global_atomic_cmpswap_x2 v[2:3], v4, v[6:9], s[2:3] offset:24 sc0 sc1
	s_waitcnt vmcnt(0)
	buffer_inv sc0 sc1
	v_cmp_eq_u64_e32 vcc, v[2:3], v[8:9]
	s_or_b64 s[10:11], vcc, s[10:11]
	s_andn2_b64 exec, exec, s[10:11]
	s_cbranch_execnz .LBB7_230
; %bb.231:
	s_or_b64 exec, exec, s[10:11]
.LBB7_232:
	s_or_b64 exec, exec, s[6:7]
.LBB7_233:
	s_or_b64 exec, exec, s[4:5]
	v_mov_b32_e32 v29, 0
	global_load_dwordx2 v[8:9], v29, s[2:3] offset:40
	global_load_dwordx4 v[4:7], v29, s[2:3]
	v_readfirstlane_b32 s4, v2
	v_readfirstlane_b32 s5, v3
	s_mov_b64 s[6:7], exec
	s_waitcnt vmcnt(1)
	v_readfirstlane_b32 s10, v8
	v_readfirstlane_b32 s11, v9
	s_and_b64 s[10:11], s[4:5], s[10:11]
	s_mul_i32 s12, s11, 24
	s_mul_hi_u32 s13, s10, 24
	s_add_i32 s13, s13, s12
	s_mul_i32 s12, s10, 24
	s_waitcnt vmcnt(0)
	v_lshl_add_u64 v[8:9], v[4:5], 0, s[12:13]
	s_and_saveexec_b64 s[12:13], s[0:1]
	s_cbranch_execz .LBB7_235
; %bb.234:
	v_mov_b64_e32 v[10:11], s[6:7]
	v_mov_b32_e32 v12, 2
	v_mov_b32_e32 v13, 1
	global_store_dwordx4 v[8:9], v[10:13], off offset:8
.LBB7_235:
	s_or_b64 exec, exec, s[12:13]
	s_lshl_b64 s[6:7], s[10:11], 12
	v_lshl_add_u64 v[6:7], v[6:7], 0, s[6:7]
	s_movk_i32 s6, 0xff1f
	s_mov_b32 s12, 0
	v_and_or_b32 v0, v0, s6, 32
	v_mov_b32_e32 v2, v29
	v_mov_b32_e32 v3, v29
	v_readfirstlane_b32 s6, v6
	v_readfirstlane_b32 s7, v7
	s_mov_b32 s13, s12
	s_mov_b32 s14, s12
	;; [unrolled: 1-line block ×3, first 2 shown]
	s_nop 1
	global_store_dwordx4 v28, v[0:3], s[6:7]
	s_nop 1
	v_mov_b64_e32 v[0:1], s[12:13]
	v_mov_b64_e32 v[2:3], s[14:15]
	global_store_dwordx4 v28, v[0:3], s[6:7] offset:16
	global_store_dwordx4 v28, v[0:3], s[6:7] offset:32
	;; [unrolled: 1-line block ×3, first 2 shown]
	s_and_saveexec_b64 s[6:7], s[0:1]
	s_cbranch_execz .LBB7_243
; %bb.236:
	v_mov_b32_e32 v10, 0
	global_load_dwordx2 v[14:15], v10, s[2:3] offset:32 sc0 sc1
	global_load_dwordx2 v[0:1], v10, s[2:3] offset:40
	v_mov_b32_e32 v12, s4
	v_mov_b32_e32 v13, s5
	s_waitcnt vmcnt(0)
	v_readfirstlane_b32 s10, v0
	v_readfirstlane_b32 s11, v1
	s_and_b64 s[10:11], s[10:11], s[4:5]
	s_mul_i32 s11, s11, 24
	s_mul_hi_u32 s12, s10, 24
	s_mul_i32 s10, s10, 24
	s_add_i32 s11, s12, s11
	v_lshl_add_u64 v[4:5], v[4:5], 0, s[10:11]
	global_store_dwordx2 v[4:5], v[14:15], off
	buffer_wbl2 sc0 sc1
	s_waitcnt vmcnt(0)
	global_atomic_cmpswap_x2 v[2:3], v10, v[12:15], s[2:3] offset:32 sc0 sc1
	s_waitcnt vmcnt(0)
	v_cmp_ne_u64_e32 vcc, v[2:3], v[14:15]
	s_and_saveexec_b64 s[10:11], vcc
	s_cbranch_execz .LBB7_239
; %bb.237:
	s_mov_b64 s[12:13], 0
.LBB7_238:                              ; =>This Inner Loop Header: Depth=1
	s_sleep 1
	global_store_dwordx2 v[4:5], v[2:3], off
	v_mov_b32_e32 v0, s4
	v_mov_b32_e32 v1, s5
	buffer_wbl2 sc0 sc1
	s_waitcnt vmcnt(0)
	global_atomic_cmpswap_x2 v[0:1], v10, v[0:3], s[2:3] offset:32 sc0 sc1
	s_waitcnt vmcnt(0)
	v_cmp_eq_u64_e32 vcc, v[0:1], v[2:3]
	s_or_b64 s[12:13], vcc, s[12:13]
	v_mov_b64_e32 v[2:3], v[0:1]
	s_andn2_b64 exec, exec, s[12:13]
	s_cbranch_execnz .LBB7_238
.LBB7_239:
	s_or_b64 exec, exec, s[10:11]
	v_mov_b32_e32 v3, 0
	global_load_dwordx2 v[0:1], v3, s[2:3] offset:16
	s_mov_b64 s[10:11], exec
	v_mbcnt_lo_u32_b32 v2, s10, 0
	v_mbcnt_hi_u32_b32 v2, s11, v2
	v_cmp_eq_u32_e32 vcc, 0, v2
	s_and_saveexec_b64 s[12:13], vcc
	s_cbranch_execz .LBB7_241
; %bb.240:
	s_bcnt1_i32_b64 s10, s[10:11]
	v_mov_b32_e32 v2, s10
	buffer_wbl2 sc0 sc1
	s_waitcnt vmcnt(0)
	global_atomic_add_x2 v[0:1], v[2:3], off offset:8 sc1
.LBB7_241:
	s_or_b64 exec, exec, s[12:13]
	s_waitcnt vmcnt(0)
	global_load_dwordx2 v[2:3], v[0:1], off offset:16
	s_waitcnt vmcnt(0)
	v_cmp_eq_u64_e32 vcc, 0, v[2:3]
	s_cbranch_vccnz .LBB7_243
; %bb.242:
	global_load_dword v0, v[0:1], off offset:24
	v_mov_b32_e32 v1, 0
	buffer_wbl2 sc0 sc1
	s_waitcnt vmcnt(0)
	global_store_dwordx2 v[2:3], v[0:1], off sc0 sc1
	v_and_b32_e32 v0, 0xffffff, v0
	s_nop 0
	v_readfirstlane_b32 m0, v0
	s_sendmsg sendmsg(MSG_INTERRUPT)
.LBB7_243:
	s_or_b64 exec, exec, s[6:7]
	v_lshl_add_u64 v[0:1], v[6:7], 0, v[28:29]
	s_branch .LBB7_247
.LBB7_244:                              ;   in Loop: Header=BB7_247 Depth=1
	s_or_b64 exec, exec, s[6:7]
	v_readfirstlane_b32 s6, v2
	s_cmp_eq_u32 s6, 0
	s_cbranch_scc1 .LBB7_246
; %bb.245:                              ;   in Loop: Header=BB7_247 Depth=1
	s_sleep 1
	s_cbranch_execnz .LBB7_247
	s_branch .LBB7_249
.LBB7_246:
	s_branch .LBB7_249
.LBB7_247:                              ; =>This Inner Loop Header: Depth=1
	v_mov_b32_e32 v2, 1
	s_and_saveexec_b64 s[6:7], s[0:1]
	s_cbranch_execz .LBB7_244
; %bb.248:                              ;   in Loop: Header=BB7_247 Depth=1
	global_load_dword v2, v[8:9], off offset:20 sc0 sc1
	s_waitcnt vmcnt(0)
	buffer_inv sc0 sc1
	v_and_b32_e32 v2, 1, v2
	s_branch .LBB7_244
.LBB7_249:
	global_load_dwordx2 v[2:3], v[0:1], off
	s_and_saveexec_b64 s[6:7], s[0:1]
	s_cbranch_execz .LBB7_252
; %bb.250:
	v_mov_b32_e32 v8, 0
	global_load_dwordx2 v[0:1], v8, s[2:3] offset:40
	global_load_dwordx2 v[10:11], v8, s[2:3] offset:24 sc0 sc1
	global_load_dwordx2 v[12:13], v8, s[2:3]
	s_mov_b64 s[0:1], 0
	s_waitcnt vmcnt(2)
	v_lshl_add_u64 v[4:5], v[0:1], 0, 1
	v_lshl_add_u64 v[14:15], v[4:5], 0, s[4:5]
	v_cmp_eq_u64_e32 vcc, 0, v[14:15]
	s_waitcnt vmcnt(1)
	v_mov_b32_e32 v6, v10
	v_cndmask_b32_e32 v5, v15, v5, vcc
	v_cndmask_b32_e32 v4, v14, v4, vcc
	v_and_b32_e32 v1, v5, v1
	v_and_b32_e32 v0, v4, v0
	v_mul_lo_u32 v1, v1, 24
	v_mul_hi_u32 v7, v0, 24
	v_mul_lo_u32 v0, v0, 24
	v_add_u32_e32 v1, v7, v1
	s_waitcnt vmcnt(0)
	v_lshl_add_u64 v[0:1], v[12:13], 0, v[0:1]
	global_store_dwordx2 v[0:1], v[10:11], off
	v_mov_b32_e32 v7, v11
	buffer_wbl2 sc0 sc1
	s_waitcnt vmcnt(0)
	global_atomic_cmpswap_x2 v[6:7], v8, v[4:7], s[2:3] offset:24 sc0 sc1
	s_waitcnt vmcnt(0)
	v_cmp_ne_u64_e32 vcc, v[6:7], v[10:11]
	s_and_b64 exec, exec, vcc
	s_cbranch_execz .LBB7_252
.LBB7_251:                              ; =>This Inner Loop Header: Depth=1
	s_sleep 1
	global_store_dwordx2 v[0:1], v[6:7], off
	buffer_wbl2 sc0 sc1
	s_waitcnt vmcnt(0)
	global_atomic_cmpswap_x2 v[10:11], v8, v[4:7], s[2:3] offset:24 sc0 sc1
	s_waitcnt vmcnt(0)
	v_cmp_eq_u64_e32 vcc, v[10:11], v[6:7]
	s_or_b64 s[0:1], vcc, s[0:1]
	v_mov_b64_e32 v[6:7], v[10:11]
	s_andn2_b64 exec, exec, s[0:1]
	s_cbranch_execnz .LBB7_251
.LBB7_252:
	s_or_b64 exec, exec, s[6:7]
.LBB7_253:
	v_readfirstlane_b32 s0, v36
	s_waitcnt vmcnt(0)
	v_mov_b64_e32 v[0:1], 0
	v_cmp_eq_u32_e64 s[0:1], s0, v36
	s_and_saveexec_b64 s[4:5], s[0:1]
	s_cbranch_execz .LBB7_259
; %bb.254:
	v_mov_b32_e32 v4, 0
	global_load_dwordx2 v[8:9], v4, s[2:3] offset:24 sc0 sc1
	s_waitcnt vmcnt(0)
	buffer_inv sc0 sc1
	global_load_dwordx2 v[0:1], v4, s[2:3] offset:40
	global_load_dwordx2 v[6:7], v4, s[2:3]
	s_waitcnt vmcnt(1)
	v_and_b32_e32 v0, v0, v8
	v_and_b32_e32 v1, v1, v9
	v_mul_lo_u32 v1, v1, 24
	v_mul_hi_u32 v5, v0, 24
	v_add_u32_e32 v1, v5, v1
	v_mul_lo_u32 v0, v0, 24
	s_waitcnt vmcnt(0)
	v_lshl_add_u64 v[0:1], v[6:7], 0, v[0:1]
	global_load_dwordx2 v[6:7], v[0:1], off sc0 sc1
	s_waitcnt vmcnt(0)
	global_atomic_cmpswap_x2 v[0:1], v4, v[6:9], s[2:3] offset:24 sc0 sc1
	s_waitcnt vmcnt(0)
	buffer_inv sc0 sc1
	v_cmp_ne_u64_e32 vcc, v[0:1], v[8:9]
	s_and_saveexec_b64 s[6:7], vcc
	s_cbranch_execz .LBB7_258
; %bb.255:
	s_mov_b64 s[10:11], 0
.LBB7_256:                              ; =>This Inner Loop Header: Depth=1
	s_sleep 1
	global_load_dwordx2 v[6:7], v4, s[2:3] offset:40
	global_load_dwordx2 v[10:11], v4, s[2:3]
	v_mov_b64_e32 v[8:9], v[0:1]
	s_waitcnt vmcnt(1)
	v_and_b32_e32 v0, v6, v8
	s_waitcnt vmcnt(0)
	v_mad_u64_u32 v[0:1], s[12:13], v0, 24, v[10:11]
	v_and_b32_e32 v5, v7, v9
	v_mov_b32_e32 v6, v1
	v_mad_u64_u32 v[6:7], s[12:13], v5, 24, v[6:7]
	v_mov_b32_e32 v1, v6
	global_load_dwordx2 v[6:7], v[0:1], off sc0 sc1
	s_waitcnt vmcnt(0)
	global_atomic_cmpswap_x2 v[0:1], v4, v[6:9], s[2:3] offset:24 sc0 sc1
	s_waitcnt vmcnt(0)
	buffer_inv sc0 sc1
	v_cmp_eq_u64_e32 vcc, v[0:1], v[8:9]
	s_or_b64 s[10:11], vcc, s[10:11]
	s_andn2_b64 exec, exec, s[10:11]
	s_cbranch_execnz .LBB7_256
; %bb.257:
	s_or_b64 exec, exec, s[10:11]
.LBB7_258:
	s_or_b64 exec, exec, s[6:7]
.LBB7_259:
	s_or_b64 exec, exec, s[4:5]
	v_mov_b32_e32 v29, 0
	global_load_dwordx2 v[4:5], v29, s[2:3] offset:40
	global_load_dwordx4 v[6:9], v29, s[2:3]
	v_readfirstlane_b32 s4, v0
	v_readfirstlane_b32 s5, v1
	s_mov_b64 s[6:7], exec
	s_waitcnt vmcnt(1)
	v_readfirstlane_b32 s10, v4
	v_readfirstlane_b32 s11, v5
	s_and_b64 s[10:11], s[4:5], s[10:11]
	s_mul_i32 s12, s11, 24
	s_mul_hi_u32 s13, s10, 24
	s_add_i32 s13, s13, s12
	s_mul_i32 s12, s10, 24
	s_waitcnt vmcnt(0)
	v_lshl_add_u64 v[10:11], v[6:7], 0, s[12:13]
	s_and_saveexec_b64 s[12:13], s[0:1]
	s_cbranch_execz .LBB7_261
; %bb.260:
	v_mov_b64_e32 v[12:13], s[6:7]
	v_mov_b32_e32 v14, 2
	v_mov_b32_e32 v15, 1
	global_store_dwordx4 v[10:11], v[12:15], off offset:8
.LBB7_261:
	s_or_b64 exec, exec, s[12:13]
	s_lshl_b64 s[6:7], s[10:11], 12
	v_lshl_add_u64 v[8:9], v[8:9], 0, s[6:7]
	s_movk_i32 s6, 0xff1f
	s_mov_b32 s12, 0
	v_and_or_b32 v2, v2, s6, 32
	v_mov_b32_e32 v4, 0x41
	v_mov_b32_e32 v5, v29
	v_readfirstlane_b32 s6, v8
	v_readfirstlane_b32 s7, v9
	s_mov_b32 s13, s12
	s_mov_b32 s14, s12
	;; [unrolled: 1-line block ×3, first 2 shown]
	s_nop 1
	global_store_dwordx4 v28, v[2:5], s[6:7]
	v_mov_b64_e32 v[0:1], s[12:13]
	s_nop 0
	v_mov_b64_e32 v[2:3], s[14:15]
	global_store_dwordx4 v28, v[0:3], s[6:7] offset:16
	global_store_dwordx4 v28, v[0:3], s[6:7] offset:32
	global_store_dwordx4 v28, v[0:3], s[6:7] offset:48
	s_and_saveexec_b64 s[6:7], s[0:1]
	s_cbranch_execz .LBB7_269
; %bb.262:
	v_mov_b32_e32 v12, 0
	global_load_dwordx2 v[16:17], v12, s[2:3] offset:32 sc0 sc1
	global_load_dwordx2 v[0:1], v12, s[2:3] offset:40
	v_mov_b32_e32 v14, s4
	v_mov_b32_e32 v15, s5
	s_waitcnt vmcnt(0)
	v_readfirstlane_b32 s10, v0
	v_readfirstlane_b32 s11, v1
	s_and_b64 s[10:11], s[10:11], s[4:5]
	s_mul_i32 s11, s11, 24
	s_mul_hi_u32 s12, s10, 24
	s_mul_i32 s10, s10, 24
	s_add_i32 s11, s12, s11
	v_lshl_add_u64 v[4:5], v[6:7], 0, s[10:11]
	global_store_dwordx2 v[4:5], v[16:17], off
	buffer_wbl2 sc0 sc1
	s_waitcnt vmcnt(0)
	global_atomic_cmpswap_x2 v[2:3], v12, v[14:17], s[2:3] offset:32 sc0 sc1
	s_waitcnt vmcnt(0)
	v_cmp_ne_u64_e32 vcc, v[2:3], v[16:17]
	s_and_saveexec_b64 s[10:11], vcc
	s_cbranch_execz .LBB7_265
; %bb.263:
	s_mov_b64 s[12:13], 0
.LBB7_264:                              ; =>This Inner Loop Header: Depth=1
	s_sleep 1
	global_store_dwordx2 v[4:5], v[2:3], off
	v_mov_b32_e32 v0, s4
	v_mov_b32_e32 v1, s5
	buffer_wbl2 sc0 sc1
	s_waitcnt vmcnt(0)
	global_atomic_cmpswap_x2 v[0:1], v12, v[0:3], s[2:3] offset:32 sc0 sc1
	s_waitcnt vmcnt(0)
	v_cmp_eq_u64_e32 vcc, v[0:1], v[2:3]
	s_or_b64 s[12:13], vcc, s[12:13]
	v_mov_b64_e32 v[2:3], v[0:1]
	s_andn2_b64 exec, exec, s[12:13]
	s_cbranch_execnz .LBB7_264
.LBB7_265:
	s_or_b64 exec, exec, s[10:11]
	v_mov_b32_e32 v3, 0
	global_load_dwordx2 v[0:1], v3, s[2:3] offset:16
	s_mov_b64 s[10:11], exec
	v_mbcnt_lo_u32_b32 v2, s10, 0
	v_mbcnt_hi_u32_b32 v2, s11, v2
	v_cmp_eq_u32_e32 vcc, 0, v2
	s_and_saveexec_b64 s[12:13], vcc
	s_cbranch_execz .LBB7_267
; %bb.266:
	s_bcnt1_i32_b64 s10, s[10:11]
	v_mov_b32_e32 v2, s10
	buffer_wbl2 sc0 sc1
	s_waitcnt vmcnt(0)
	global_atomic_add_x2 v[0:1], v[2:3], off offset:8 sc1
.LBB7_267:
	s_or_b64 exec, exec, s[12:13]
	s_waitcnt vmcnt(0)
	global_load_dwordx2 v[2:3], v[0:1], off offset:16
	s_waitcnt vmcnt(0)
	v_cmp_eq_u64_e32 vcc, 0, v[2:3]
	s_cbranch_vccnz .LBB7_269
; %bb.268:
	global_load_dword v0, v[0:1], off offset:24
	v_mov_b32_e32 v1, 0
	buffer_wbl2 sc0 sc1
	s_waitcnt vmcnt(0)
	global_store_dwordx2 v[2:3], v[0:1], off sc0 sc1
	v_and_b32_e32 v0, 0xffffff, v0
	s_nop 0
	v_readfirstlane_b32 m0, v0
	s_sendmsg sendmsg(MSG_INTERRUPT)
.LBB7_269:
	s_or_b64 exec, exec, s[6:7]
	v_lshl_add_u64 v[0:1], v[8:9], 0, v[28:29]
	s_branch .LBB7_273
.LBB7_270:                              ;   in Loop: Header=BB7_273 Depth=1
	s_or_b64 exec, exec, s[6:7]
	v_readfirstlane_b32 s6, v2
	s_cmp_eq_u32 s6, 0
	s_cbranch_scc1 .LBB7_272
; %bb.271:                              ;   in Loop: Header=BB7_273 Depth=1
	s_sleep 1
	s_cbranch_execnz .LBB7_273
	s_branch .LBB7_275
.LBB7_272:
	s_branch .LBB7_275
.LBB7_273:                              ; =>This Inner Loop Header: Depth=1
	v_mov_b32_e32 v2, 1
	s_and_saveexec_b64 s[6:7], s[0:1]
	s_cbranch_execz .LBB7_270
; %bb.274:                              ;   in Loop: Header=BB7_273 Depth=1
	global_load_dword v2, v[10:11], off offset:20 sc0 sc1
	s_waitcnt vmcnt(0)
	buffer_inv sc0 sc1
	v_and_b32_e32 v2, 1, v2
	s_branch .LBB7_270
.LBB7_275:
	global_load_dwordx2 v[0:1], v[0:1], off
	s_and_saveexec_b64 s[6:7], s[0:1]
	s_cbranch_execz .LBB7_278
; %bb.276:
	v_mov_b32_e32 v8, 0
	global_load_dwordx2 v[6:7], v8, s[2:3] offset:40
	global_load_dwordx2 v[10:11], v8, s[2:3] offset:24 sc0 sc1
	global_load_dwordx2 v[12:13], v8, s[2:3]
	s_mov_b64 s[0:1], 0
	s_waitcnt vmcnt(2)
	v_lshl_add_u64 v[2:3], v[6:7], 0, 1
	v_lshl_add_u64 v[14:15], v[2:3], 0, s[4:5]
	v_cmp_eq_u64_e32 vcc, 0, v[14:15]
	s_waitcnt vmcnt(1)
	v_mov_b32_e32 v4, v10
	v_cndmask_b32_e32 v3, v15, v3, vcc
	v_cndmask_b32_e32 v2, v14, v2, vcc
	v_and_b32_e32 v5, v3, v7
	v_and_b32_e32 v6, v2, v6
	v_mul_lo_u32 v5, v5, 24
	v_mul_hi_u32 v7, v6, 24
	v_mul_lo_u32 v6, v6, 24
	v_add_u32_e32 v7, v7, v5
	s_waitcnt vmcnt(0)
	v_lshl_add_u64 v[6:7], v[12:13], 0, v[6:7]
	global_store_dwordx2 v[6:7], v[10:11], off
	v_mov_b32_e32 v5, v11
	buffer_wbl2 sc0 sc1
	s_waitcnt vmcnt(0)
	global_atomic_cmpswap_x2 v[4:5], v8, v[2:5], s[2:3] offset:24 sc0 sc1
	s_waitcnt vmcnt(0)
	v_cmp_ne_u64_e32 vcc, v[4:5], v[10:11]
	s_and_b64 exec, exec, vcc
	s_cbranch_execz .LBB7_278
.LBB7_277:                              ; =>This Inner Loop Header: Depth=1
	s_sleep 1
	global_store_dwordx2 v[6:7], v[4:5], off
	buffer_wbl2 sc0 sc1
	s_waitcnt vmcnt(0)
	global_atomic_cmpswap_x2 v[10:11], v8, v[2:5], s[2:3] offset:24 sc0 sc1
	s_waitcnt vmcnt(0)
	v_cmp_eq_u64_e32 vcc, v[10:11], v[4:5]
	s_or_b64 s[0:1], vcc, s[0:1]
	v_mov_b64_e32 v[4:5], v[10:11]
	s_andn2_b64 exec, exec, s[0:1]
	s_cbranch_execnz .LBB7_277
.LBB7_278:
	s_or_b64 exec, exec, s[6:7]
	s_getpc_b64 s[0:1]
	s_add_u32 s0, s0, __FUNCTION__._ZL18flash_attn_ext_vecILi64ELi1EL9ggml_type2ELS0_30ELb1EEvPKcS2_S2_S2_S2_PKiPfP15HIP_vector_typeIfLj2EEffffjfiS6_IjLj3EEiiiiiiiiiiiliiliiiiil@rel32@lo+4
	s_addc_u32 s1, s1, __FUNCTION__._ZL18flash_attn_ext_vecILi64ELi1EL9ggml_type2ELS0_30ELb1EEvPKcS2_S2_S2_S2_PKiPfP15HIP_vector_typeIfLj2EEffffjfiS6_IjLj3EEiiiiiiiiiiiliiliiiiil@rel32@hi+12
	s_cmp_lg_u64 s[0:1], 0
	s_cselect_b32 s4, 19, 0
	v_mov_b32_e32 v2, s0
	v_mov_b32_e32 v3, s1
	;; [unrolled: 1-line block ×4, first 2 shown]
	s_getpc_b64 s[2:3]
	s_add_u32 s2, s2, __ockl_printf_append_string_n@rel32@lo+4
	s_addc_u32 s3, s3, __ockl_printf_append_string_n@rel32@hi+12
	s_mov_b64 s[20:21], s[8:9]
	s_swappc_b64 s[30:31], s[2:3]
	s_mov_b64 s[8:9], s[20:21]
	v_mov_b32_e32 v2, 0x514
	v_mov_b32_e32 v3, 0
	;; [unrolled: 1-line block ×3, first 2 shown]
	s_getpc_b64 s[0:1]
	s_add_u32 s0, s0, __ockl_printf_append_args@rel32@lo+4
	s_addc_u32 s1, s1, __ockl_printf_append_args@rel32@hi+12
	s_swappc_b64 s[30:31], s[0:1]
	s_trap 2
.Lfunc_end7:
	.size	_ZL14no_device_codePKciS0_iS0_, .Lfunc_end7-_ZL14no_device_codePKciS0_iS0_
                                        ; -- End function
	.section	.AMDGPU.csdata,"",@progbits
; Function info:
; codeLenInByte = 9536
; NumSgprs: 40
; NumVgprs: 39
; NumAgprs: 0
; TotalNumVgprs: 39
; ScratchSize: 16
; MemoryBound: 0
	.section	.text._ZL18flash_attn_ext_vecILi64ELi1EL9ggml_type2ELS0_30ELb1EEvPKcS2_S2_S2_S2_PKiPfP15HIP_vector_typeIfLj2EEffffjfiS6_IjLj3EEiiiiiiiiiiiliiliiiiil,"axG",@progbits,_ZL18flash_attn_ext_vecILi64ELi1EL9ggml_type2ELS0_30ELb1EEvPKcS2_S2_S2_S2_PKiPfP15HIP_vector_typeIfLj2EEffffjfiS6_IjLj3EEiiiiiiiiiiiliiliiiiil,comdat
	.globl	_ZL18flash_attn_ext_vecILi64ELi1EL9ggml_type2ELS0_30ELb1EEvPKcS2_S2_S2_S2_PKiPfP15HIP_vector_typeIfLj2EEffffjfiS6_IjLj3EEiiiiiiiiiiiliiliiiiil ; -- Begin function _ZL18flash_attn_ext_vecILi64ELi1EL9ggml_type2ELS0_30ELb1EEvPKcS2_S2_S2_S2_PKiPfP15HIP_vector_typeIfLj2EEffffjfiS6_IjLj3EEiiiiiiiiiiiliiliiiiil
	.p2align	8
	.type	_ZL18flash_attn_ext_vecILi64ELi1EL9ggml_type2ELS0_30ELb1EEvPKcS2_S2_S2_S2_PKiPfP15HIP_vector_typeIfLj2EEffffjfiS6_IjLj3EEiiiiiiiiiiiliiliiiiil,@function
_ZL18flash_attn_ext_vecILi64ELi1EL9ggml_type2ELS0_30ELb1EEvPKcS2_S2_S2_S2_PKiPfP15HIP_vector_typeIfLj2EEffffjfiS6_IjLj3EEiiiiiiiiiiiliiliiiiil: ; @_ZL18flash_attn_ext_vecILi64ELi1EL9ggml_type2ELS0_30ELb1EEvPKcS2_S2_S2_S2_PKiPfP15HIP_vector_typeIfLj2EEffffjfiS6_IjLj3EEiiiiiiiiiiiliiliiiiil
; %bb.0:
	s_add_u32 s8, s0, 0xd0
	s_addc_u32 s9, s1, 0
	s_mov_b32 s32, 0
	s_getpc_b64 s[0:1]
	s_add_u32 s0, s0, _ZL14no_device_codePKciS0_iS0_@rel32@lo+4
	s_addc_u32 s1, s1, _ZL14no_device_codePKciS0_iS0_@rel32@hi+12
	s_swappc_b64 s[30:31], s[0:1]
	.section	.rodata,"a",@progbits
	.p2align	6, 0x0
	.amdhsa_kernel _ZL18flash_attn_ext_vecILi64ELi1EL9ggml_type2ELS0_30ELb1EEvPKcS2_S2_S2_S2_PKiPfP15HIP_vector_typeIfLj2EEffffjfiS6_IjLj3EEiiiiiiiiiiiliiliiiiil
		.amdhsa_group_segment_fixed_size 0
		.amdhsa_private_segment_fixed_size 16
		.amdhsa_kernarg_size 464
		.amdhsa_user_sgpr_count 2
		.amdhsa_user_sgpr_dispatch_ptr 0
		.amdhsa_user_sgpr_queue_ptr 0
		.amdhsa_user_sgpr_kernarg_segment_ptr 1
		.amdhsa_user_sgpr_dispatch_id 0
		.amdhsa_user_sgpr_kernarg_preload_length 0
		.amdhsa_user_sgpr_kernarg_preload_offset 0
		.amdhsa_user_sgpr_private_segment_size 0
		.amdhsa_uses_dynamic_stack 0
		.amdhsa_enable_private_segment 1
		.amdhsa_system_sgpr_workgroup_id_x 1
		.amdhsa_system_sgpr_workgroup_id_y 0
		.amdhsa_system_sgpr_workgroup_id_z 0
		.amdhsa_system_sgpr_workgroup_info 0
		.amdhsa_system_vgpr_workitem_id 0
		.amdhsa_next_free_vgpr 39
		.amdhsa_next_free_sgpr 34
		.amdhsa_accum_offset 40
		.amdhsa_reserve_vcc 1
		.amdhsa_float_round_mode_32 0
		.amdhsa_float_round_mode_16_64 0
		.amdhsa_float_denorm_mode_32 3
		.amdhsa_float_denorm_mode_16_64 3
		.amdhsa_dx10_clamp 1
		.amdhsa_ieee_mode 1
		.amdhsa_fp16_overflow 0
		.amdhsa_tg_split 0
		.amdhsa_exception_fp_ieee_invalid_op 0
		.amdhsa_exception_fp_denorm_src 0
		.amdhsa_exception_fp_ieee_div_zero 0
		.amdhsa_exception_fp_ieee_overflow 0
		.amdhsa_exception_fp_ieee_underflow 0
		.amdhsa_exception_fp_ieee_inexact 0
		.amdhsa_exception_int_div_zero 0
	.end_amdhsa_kernel
	.section	.text._ZL18flash_attn_ext_vecILi64ELi1EL9ggml_type2ELS0_30ELb1EEvPKcS2_S2_S2_S2_PKiPfP15HIP_vector_typeIfLj2EEffffjfiS6_IjLj3EEiiiiiiiiiiiliiliiiiil,"axG",@progbits,_ZL18flash_attn_ext_vecILi64ELi1EL9ggml_type2ELS0_30ELb1EEvPKcS2_S2_S2_S2_PKiPfP15HIP_vector_typeIfLj2EEffffjfiS6_IjLj3EEiiiiiiiiiiiliiliiiiil,comdat
.Lfunc_end8:
	.size	_ZL18flash_attn_ext_vecILi64ELi1EL9ggml_type2ELS0_30ELb1EEvPKcS2_S2_S2_S2_PKiPfP15HIP_vector_typeIfLj2EEffffjfiS6_IjLj3EEiiiiiiiiiiiliiliiiiil, .Lfunc_end8-_ZL18flash_attn_ext_vecILi64ELi1EL9ggml_type2ELS0_30ELb1EEvPKcS2_S2_S2_S2_PKiPfP15HIP_vector_typeIfLj2EEffffjfiS6_IjLj3EEiiiiiiiiiiiliiliiiiil
                                        ; -- End function
	.section	.AMDGPU.csdata,"",@progbits
; Kernel info:
; codeLenInByte = 40
; NumSgprs: 40
; NumVgprs: 39
; NumAgprs: 0
; TotalNumVgprs: 39
; ScratchSize: 16
; MemoryBound: 0
; FloatMode: 240
; IeeeMode: 1
; LDSByteSize: 0 bytes/workgroup (compile time only)
; SGPRBlocks: 4
; VGPRBlocks: 4
; NumSGPRsForWavesPerEU: 40
; NumVGPRsForWavesPerEU: 39
; AccumOffset: 40
; Occupancy: 8
; WaveLimiterHint : 1
; COMPUTE_PGM_RSRC2:SCRATCH_EN: 1
; COMPUTE_PGM_RSRC2:USER_SGPR: 2
; COMPUTE_PGM_RSRC2:TRAP_HANDLER: 0
; COMPUTE_PGM_RSRC2:TGID_X_EN: 1
; COMPUTE_PGM_RSRC2:TGID_Y_EN: 0
; COMPUTE_PGM_RSRC2:TGID_Z_EN: 0
; COMPUTE_PGM_RSRC2:TIDIG_COMP_CNT: 0
; COMPUTE_PGM_RSRC3_GFX90A:ACCUM_OFFSET: 9
; COMPUTE_PGM_RSRC3_GFX90A:TG_SPLIT: 0
	.section	.text._ZL18flash_attn_ext_vecILi64ELi2EL9ggml_type2ELS0_30ELb0EEvPKcS2_S2_S2_S2_PKiPfP15HIP_vector_typeIfLj2EEffffjfiS6_IjLj3EEiiiiiiiiiiiliiliiiiil,"axG",@progbits,_ZL18flash_attn_ext_vecILi64ELi2EL9ggml_type2ELS0_30ELb0EEvPKcS2_S2_S2_S2_PKiPfP15HIP_vector_typeIfLj2EEffffjfiS6_IjLj3EEiiiiiiiiiiiliiliiiiil,comdat
	.globl	_ZL18flash_attn_ext_vecILi64ELi2EL9ggml_type2ELS0_30ELb0EEvPKcS2_S2_S2_S2_PKiPfP15HIP_vector_typeIfLj2EEffffjfiS6_IjLj3EEiiiiiiiiiiiliiliiiiil ; -- Begin function _ZL18flash_attn_ext_vecILi64ELi2EL9ggml_type2ELS0_30ELb0EEvPKcS2_S2_S2_S2_PKiPfP15HIP_vector_typeIfLj2EEffffjfiS6_IjLj3EEiiiiiiiiiiiliiliiiiil
	.p2align	8
	.type	_ZL18flash_attn_ext_vecILi64ELi2EL9ggml_type2ELS0_30ELb0EEvPKcS2_S2_S2_S2_PKiPfP15HIP_vector_typeIfLj2EEffffjfiS6_IjLj3EEiiiiiiiiiiiliiliiiiil,@function
_ZL18flash_attn_ext_vecILi64ELi2EL9ggml_type2ELS0_30ELb0EEvPKcS2_S2_S2_S2_PKiPfP15HIP_vector_typeIfLj2EEffffjfiS6_IjLj3EEiiiiiiiiiiiliiliiiiil: ; @_ZL18flash_attn_ext_vecILi64ELi2EL9ggml_type2ELS0_30ELb0EEvPKcS2_S2_S2_S2_PKiPfP15HIP_vector_typeIfLj2EEffffjfiS6_IjLj3EEiiiiiiiiiiiliiliiiiil
; %bb.0:
	s_load_dwordx2 s[18:19], s[0:1], 0x64
	s_load_dwordx2 s[54:55], s[0:1], 0x80
	;; [unrolled: 1-line block ×3, first 2 shown]
	v_mov_b32_e32 v77, 1.0
	s_waitcnt lgkmcnt(0)
	v_cvt_f32_u32_e32 v1, s19
	s_sub_i32 s5, 0, s19
	v_rcp_iflag_f32_e32 v1, v1
	s_nop 0
	v_mul_f32_e32 v1, 0x4f7ffffe, v1
	v_cvt_u32_f32_e32 v1, v1
	s_nop 0
	v_readfirstlane_b32 s6, v1
	s_mul_i32 s5, s5, s6
	s_mul_hi_u32 s5, s6, s5
	s_add_i32 s6, s6, s5
	s_mul_hi_u32 s5, s4, s6
	s_mul_i32 s6, s5, s19
	s_sub_i32 s6, s4, s6
	s_add_i32 s7, s5, 1
	s_sub_i32 s8, s6, s19
	s_cmp_ge_u32 s6, s19
	s_cselect_b32 s5, s7, s5
	s_cselect_b32 s6, s8, s6
	s_add_i32 s7, s5, 1
	s_cmp_ge_u32 s6, s19
	s_cselect_b32 s68, s7, s5
	s_abs_i32 s5, s55
	v_cvt_f32_u32_e32 v1, s5
	s_mul_i32 s8, s68, s19
	s_sub_i32 s9, 0, s5
	s_sub_i32 s20, s4, s8
	v_rcp_iflag_f32_e32 v1, v1
	s_abs_i32 s7, s19
	s_xor_b32 s6, s19, s55
	s_ashr_i32 s6, s6, 31
	v_mul_f32_e32 v1, 0x4f7ffffe, v1
	v_cvt_u32_f32_e32 v1, v1
	s_nop 0
	v_readfirstlane_b32 s4, v1
	s_mul_i32 s9, s9, s4
	s_mul_hi_u32 s8, s4, s9
	s_add_i32 s4, s4, s8
	s_mul_hi_u32 s4, s7, s4
	s_mul_i32 s8, s4, s5
	s_sub_i32 s7, s7, s8
	s_add_i32 s9, s4, 1
	s_sub_i32 s8, s7, s5
	s_cmp_ge_u32 s7, s5
	s_cselect_b32 s4, s9, s4
	s_cselect_b32 s7, s8, s7
	s_add_i32 s8, s4, 1
	s_cmp_ge_u32 s7, s5
	s_cselect_b32 s4, s8, s4
	s_xor_b32 s4, s4, s6
	s_sub_i32 s26, s4, s6
	s_abs_i32 s10, s10
	s_abs_i32 s23, s26
	v_cvt_f32_u32_e32 v1, s10
	v_cvt_f32_u32_e32 v2, s23
	s_load_dwordx4 s[12:15], s[0:1], 0x40
	s_load_dword s4, s[0:1], 0x50
	v_rcp_iflag_f32_e32 v1, v1
	v_rcp_iflag_f32_e32 v2, v2
	s_waitcnt lgkmcnt(0)
	v_cmp_le_f32_e64 s[6:7], s13, 0
	s_and_b64 vcc, exec, s[6:7]
	v_mul_f32_e32 v1, 0x4f7ffffe, v1
	v_mul_f32_e32 v2, 0x4f7ffffe, v2
	v_cvt_u32_f32_e32 v1, v1
	v_cvt_u32_f32_e32 v2, v2
	v_readfirstlane_b32 s13, v1
	v_readfirstlane_b32 s27, v2
	s_cbranch_vccnz .LBB9_2
; %bb.1:
	s_sub_i32 s5, s20, s4
	s_lshl_b32 s5, s5, 1
	s_add_i32 s6, s20, 1
	s_or_b32 s7, s5, 1
	s_cmp_lt_u32 s20, s4
	s_cselect_b64 vcc, -1, 0
	s_and_b64 s[4:5], vcc, exec
	v_mov_b32_e32 v1, s15
	v_mov_b32_e32 v2, s14
	s_cselect_b32 s4, s6, s7
	v_cndmask_b32_e32 v18, v1, v2, vcc
	v_cvt_f32_i32_e32 v1, s4
	v_cmp_neq_f32_e32 vcc, 1.0, v18
	s_mov_b32 s4, 0x3f2aaaab
	s_movk_i32 s6, 0x204
	v_cndmask_b32_e32 v19, 1.0, v1, vcc
	v_cmp_eq_f32_e32 vcc, 0, v19
	s_mov_b32 s8, 0x42b17218
	s_mov_b32 s7, 0x7f800000
	v_cndmask_b32_e64 v20, |v18|, 1.0, vcc
	v_frexp_mant_f32_e32 v1, v20
	v_cmp_gt_f32_e64 s[4:5], s4, v1
	s_brev_b32 s14, -2
	s_nop 0
	v_cndmask_b32_e64 v2, 1.0, 2.0, s[4:5]
	v_mul_f32_e32 v1, v1, v2
	v_add_f32_e32 v2, 1.0, v1
	v_rcp_f32_e32 v10, v2
	v_add_f32_e32 v3, -1.0, v2
	v_sub_f32_e32 v5, v1, v3
	v_add_f32_e32 v3, -1.0, v1
	v_mul_f32_e32 v1, v3, v10
	v_mul_f32_e32 v4, v2, v1
	v_fma_f32 v6, v1, v2, -v4
	v_fmac_f32_e32 v6, v1, v5
	v_add_f32_e32 v2, v4, v6
	v_sub_f32_e32 v5, v3, v2
	v_pk_add_f32 v[8:9], v[2:3], v[4:5] neg_lo:[0,1] neg_hi:[0,1]
	v_mov_b32_e32 v7, v2
	v_pk_add_f32 v[2:3], v[8:9], v[6:7] neg_lo:[0,1] neg_hi:[0,1]
	v_mov_b32_e32 v6, 0x3e91f4c4
	v_add_f32_e32 v2, v2, v3
	v_add_f32_e32 v2, v5, v2
	v_mul_f32_e32 v3, v10, v2
	v_add_f32_e32 v2, v1, v3
	v_sub_f32_e32 v1, v2, v1
	v_sub_f32_e32 v1, v3, v1
	v_mul_f32_e32 v3, v2, v2
	v_fma_f32 v5, v2, v2, -v3
	v_add_f32_e32 v4, v1, v1
	v_fmac_f32_e32 v5, v2, v4
	v_add_f32_e32 v4, v3, v5
	v_fmac_f32_e32 v6, 0x3e76c4e1, v4
	v_fmaak_f32 v6, v4, v6, 0x3ecccdef
	v_sub_f32_e32 v3, v4, v3
	v_sub_f32_e32 v12, v5, v3
	v_mul_f32_e32 v3, v4, v6
	v_fma_f32 v5, v4, v6, -v3
	v_fmac_f32_e32 v5, v12, v6
	v_add_f32_e32 v6, v3, v5
	v_add_f32_e32 v7, 0x3f2aaaaa, v6
	v_sub_f32_e32 v3, v6, v3
	v_sub_f32_e32 v3, v5, v3
	v_add_f32_e32 v5, 0xbf2aaaaa, v7
	v_add_f32_e32 v3, 0x31739010, v3
	v_sub_f32_e32 v5, v6, v5
	v_pk_mul_f32 v[8:9], v[2:3], v[4:5]
	v_pk_add_f32 v[10:11], v[2:3], v[4:5]
	v_fma_f32 v6, v4, v2, -v8
	v_fmac_f32_e32 v6, v4, v1
	v_mov_b32_e32 v9, v11
	v_fmac_f32_e32 v6, v12, v2
	v_pk_add_f32 v[4:5], v[8:9], v[6:7]
	v_ldexp_f32 v1, v1, 1
	v_sub_f32_e32 v3, v4, v8
	v_sub_f32_e32 v3, v6, v3
	;; [unrolled: 1-line block ×3, first 2 shown]
	v_add_f32_e32 v9, v11, v6
	v_mov_b32_e32 v6, v5
	v_pk_mul_f32 v[6:7], v[4:5], v[6:7]
	v_cvt_f64_f32_e32 v[10:11], v20
	v_frexp_exp_i32_f64_e32 v7, v[10:11]
	v_subbrev_co_u32_e64 v7, s[4:5], 0, v7, s[4:5]
	v_cvt_f32_i32_e32 v7, v7
	v_fma_f32 v8, v4, v5, -v6
	v_fmac_f32_e32 v8, v4, v9
	s_mov_b32 s4, 0x3f317218
	v_mul_f32_e32 v4, 0x3f317218, v7
	v_fmac_f32_e32 v8, v3, v5
	v_fma_f32 v3, v7, s4, -v4
	v_fmamk_f32 v10, v7, 0xb102e308, v3
	v_ldexp_f32 v11, v2, 1
	v_add_f32_e32 v5, v6, v8
	v_pk_add_f32 v[2:3], v[4:5], v[10:11]
	v_mov_b32_e32 v12, v5
	v_mov_b32_e32 v13, v3
	;; [unrolled: 1-line block ×3, first 2 shown]
	v_pk_add_f32 v[6:7], v[12:13], v[6:7] neg_lo:[0,1] neg_hi:[0,1]
	v_mov_b32_e32 v9, v5
	v_pk_add_f32 v[6:7], v[8:9], v[6:7] neg_lo:[0,1] neg_hi:[0,1]
	v_mov_b32_e32 v11, v2
	v_add_f32_e32 v1, v1, v6
	v_add_f32_e32 v5, v1, v7
	v_pk_add_f32 v[6:7], v[2:3], v[4:5] neg_lo:[0,1] neg_hi:[0,1]
	v_pk_add_f32 v[8:9], v[2:3], v[4:5]
	v_mov_b32_e32 v12, v6
	v_mov_b32_e32 v13, v9
	v_pk_add_f32 v[12:13], v[10:11], v[12:13]
	v_pk_add_f32 v[6:7], v[10:11], v[6:7] neg_lo:[0,1] neg_hi:[0,1]
	v_mov_b32_e32 v4, v13
	v_pk_add_f32 v[14:15], v[4:5], v[2:3] neg_lo:[0,1] neg_hi:[0,1]
	v_mov_b32_e32 v12, v9
	v_mov_b32_e32 v1, v14
	;; [unrolled: 1-line block ×4, first 2 shown]
	v_pk_add_f32 v[16:17], v[8:9], v[0:1] neg_lo:[0,1] neg_hi:[0,1]
	v_pk_add_f32 v[2:3], v[12:13], v[2:3] neg_lo:[0,1] neg_hi:[0,1]
	v_mov_b32_e32 v10, v5
	v_pk_add_f32 v[2:3], v[10:11], v[2:3] neg_lo:[0,1] neg_hi:[0,1]
	v_mov_b32_e32 v16, v6
	v_pk_add_f32 v[8:9], v[16:17], v[2:3]
	v_mov_b32_e32 v7, v13
	v_mov_b32_e32 v10, v9
	v_pk_add_f32 v[10:11], v[8:9], v[10:11]
	s_nop 0
	v_pk_add_f32 v[4:5], v[4:5], v[10:11]
	v_mov_b32_e32 v3, v10
	v_mov_b32_e32 v9, v4
	v_pk_add_f32 v[12:13], v[8:9], v[6:7] neg_lo:[0,1] neg_hi:[0,1]
	s_nop 0
	v_sub_f32_e32 v1, v8, v12
	v_pk_add_f32 v[2:3], v[2:3], v[12:13] neg_lo:[0,1] neg_hi:[0,1]
	v_sub_f32_e32 v1, v6, v1
	v_add_f32_e32 v1, v2, v1
	v_add_f32_e32 v1, v1, v3
	;; [unrolled: 1-line block ×3, first 2 shown]
	v_sub_f32_e32 v3, v2, v4
	v_sub_f32_e32 v1, v1, v3
	v_mul_f32_e32 v3, v19, v2
	v_fma_f32 v2, v19, v2, -v3
	v_fmac_f32_e32 v2, v19, v1
	v_add_f32_e32 v1, v3, v2
	v_cmp_class_f32_e64 s[4:5], v3, s6
	v_sub_f32_e32 v4, v1, v3
	v_sub_f32_e32 v2, v2, v4
	v_cndmask_b32_e64 v1, v1, v3, s[4:5]
	v_mov_b32_e32 v3, 0x37000000
	v_cmp_eq_f32_e64 s[4:5], s8, v1
	s_nop 1
	v_cndmask_b32_e64 v3, 0, v3, s[4:5]
	v_sub_f32_e32 v4, v1, v3
	s_mov_b32 s4, 0x3fb8aa3b
	v_mul_f32_e32 v5, 0x3fb8aa3b, v4
	v_fma_f32 v6, v4, s4, -v5
	v_rndne_f32_e32 v7, v5
	v_fmamk_f32 v6, v4, 0x32a5705f, v6
	v_sub_f32_e32 v5, v5, v7
	v_add_f32_e32 v5, v5, v6
	v_exp_f32_e32 v5, v5
	v_cvt_i32_f32_e32 v6, v7
	v_cmp_neq_f32_e64 s[4:5], |v1|, s7
	s_nop 1
	v_cndmask_b32_e64 v1, 0, v2, s[4:5]
	s_mov_b32 s4, 0xc2ce8ed0
	v_ldexp_f32 v2, v5, v6
	v_cmp_ngt_f32_e64 s[4:5], s4, v4
	v_add_f32_e32 v1, v3, v1
	v_mov_b32_e32 v3, 0x7f800000
	v_cndmask_b32_e64 v2, 0, v2, s[4:5]
	v_cmp_nlt_f32_e64 s[4:5], s8, v4
	v_trunc_f32_e32 v4, v19
	v_mov_b32_e32 v5, 0x7fc00000
	v_cndmask_b32_e64 v2, v3, v2, s[4:5]
	v_fma_f32 v1, v2, v1, v2
	v_cmp_class_f32_e64 s[4:5], v2, s6
	v_cmp_gt_f32_e64 s[8:9], 0, v19
	s_nop 0
	v_cndmask_b32_e64 v1, v1, v2, s[4:5]
	v_cndmask_b32_e64 v2, v18, 1.0, vcc
	v_cmp_eq_f32_e32 vcc, v4, v19
	v_mul_f32_e32 v4, 0.5, v19
	v_trunc_f32_e32 v6, v4
	v_cmp_neq_f32_e64 s[4:5], v6, v4
	s_and_b64 s[4:5], vcc, s[4:5]
	s_nop 0
	v_cndmask_b32_e64 v4, 1.0, v2, s[4:5]
	v_bfi_b32 v1, s14, v1, v4
	v_cndmask_b32_e32 v4, v5, v1, vcc
	v_cmp_gt_f32_e32 vcc, 0, v2
	s_nop 1
	v_cndmask_b32_e32 v1, v1, v4, vcc
	v_cmp_eq_f32_e32 vcc, s7, v20
	v_cmp_eq_f32_e64 s[6:7], 0, v2
	s_xor_b64 s[8:9], s[8:9], s[6:7]
	v_cndmask_b32_e64 v3, v3, 0, s[8:9]
	v_cndmask_b32_e64 v4, 0, v2, s[4:5]
	v_bfi_b32 v3, s14, v3, v4
	s_or_b64 vcc, vcc, s[6:7]
	v_cndmask_b32_e32 v1, v1, v3, vcc
	v_cmp_o_f32_e32 vcc, v2, v2
	s_nop 1
	v_cndmask_b32_e32 v77, v5, v1, vcc
.LBB9_2:
	s_load_dwordx16 s[36:51], s[0:1], 0x0
	v_bfe_u32 v73, v0, 10, 10
	v_mov_b32_e32 v4, 0
	s_lshl_b32 s33, s2, 1
	v_and_b32_e32 v72, 0x3ff, v0
	v_mov_b32_e32 v5, v4
	v_mov_b32_e32 v6, v4
	;; [unrolled: 1-line block ×3, first 2 shown]
	v_cmp_lt_u32_e64 s[16:17], 1, v73
	v_cmp_gt_u32_e32 vcc, 2, v73
	scratch_store_dword off, v4, off
	scratch_store_dwordx4 off, v[4:7], off offset:4
	scratch_store_dwordx3 off, v[4:6], off offset:20
	s_and_saveexec_b64 s[4:5], vcc
	s_cbranch_execz .LBB9_23
; %bb.3:
	v_or_b32_e32 v0, s33, v73
	v_lshlrev_b32_e32 v5, 7, v73
	v_cmp_le_i32_e32 vcc, s18, v0
	s_and_saveexec_b64 s[6:7], vcc
	s_xor_b64 s[6:7], exec, s[6:7]
	s_cbranch_execz .LBB9_9
; %bb.4:
	v_cmp_gt_u32_e32 vcc, 16, v72
	s_and_saveexec_b64 s[8:9], vcc
	s_cbranch_execz .LBB9_6
; %bb.5:
	v_lshl_add_u32 v0, v72, 2, v5
	v_mov_b32_e32 v1, 0
	ds_write_b32 v0, v1
.LBB9_6:
	s_or_b64 exec, exec, s[8:9]
	v_cmp_gt_u32_e32 vcc, 2, v72
	s_and_saveexec_b64 s[8:9], vcc
	s_cbranch_execz .LBB9_8
; %bb.7:
	v_mov_b32_e32 v0, 0
	v_lshl_add_u32 v2, v72, 3, v5
	v_mov_b32_e32 v1, v0
	ds_write_b64 v2, v[0:1] offset:64
.LBB9_8:
	s_or_b64 exec, exec, s[8:9]
                                        ; implicit-def: $vgpr5
.LBB9_9:
	s_andn2_saveexec_b64 s[6:7], s[6:7]
	s_cbranch_execz .LBB9_23
; %bb.10:
	s_load_dwordx4 s[28:31], s[0:1], 0x70
	v_cmp_gt_u32_e32 vcc, 16, v72
	v_mov_b32_e32 v8, 0
	s_waitcnt lgkmcnt(0)
	s_mul_i32 s6, s68, s30
	s_mul_i32 s8, s33, s28
	;; [unrolled: 1-line block ×3, first 2 shown]
	s_add_i32 s6, s6, s8
	s_add_i32 s6, s6, s7
	s_ashr_i32 s7, s6, 31
	v_mul_lo_u32 v0, v73, s28
	s_add_u32 s6, s36, s6
	v_ashrrev_i32_e32 v1, 31, v0
	s_addc_u32 s7, s37, s7
	v_lshl_add_u64 v[2:3], s[6:7], 0, v[0:1]
	v_lshlrev_b32_e32 v0, 4, v72
	v_mov_b32_e32 v1, 0
	v_lshl_add_u64 v[2:3], v[2:3], 0, v[0:1]
	s_and_saveexec_b64 s[6:7], vcc
	s_cbranch_execz .LBB9_12
; %bb.11:
	global_load_dword v0, v[2:3], off
	s_waitcnt vmcnt(0)
	v_mul_f32_e32 v8, s12, v0
.LBB9_12:
	s_or_b64 exec, exec, s[6:7]
	s_and_saveexec_b64 s[6:7], vcc
	s_cbranch_execz .LBB9_14
; %bb.13:
	global_load_dword v0, v[2:3], off offset:4
	s_waitcnt vmcnt(0)
	v_mul_f32_e32 v1, s12, v0
.LBB9_14:
	s_or_b64 exec, exec, s[6:7]
	v_mov_b32_e32 v6, 0
	v_mov_b32_e32 v7, 0
	s_and_saveexec_b64 s[6:7], vcc
	s_cbranch_execz .LBB9_16
; %bb.15:
	global_load_dword v0, v[2:3], off offset:8
	s_waitcnt vmcnt(0)
	v_mul_f32_e32 v7, s12, v0
.LBB9_16:
	s_or_b64 exec, exec, s[6:7]
	s_and_saveexec_b64 s[6:7], vcc
	s_cbranch_execz .LBB9_18
; %bb.17:
	global_load_dword v0, v[2:3], off offset:12
	s_waitcnt vmcnt(0)
	v_mul_f32_e32 v6, s12, v0
.LBB9_18:
	s_or_b64 exec, exec, s[6:7]
	v_mbcnt_lo_u32_b32 v0, -1, 0
	v_mbcnt_hi_u32_b32 v0, -1, v0
	v_and_b32_e32 v2, 0x60, v0
	v_add_u32_e32 v2, 32, v2
	v_xor_b32_e32 v3, 4, v0
	v_cmp_lt_i32_e32 vcc, v3, v2
	v_max_f32_e64 v10, |v1|, |v1|
	v_max_f32_e64 v11, |v8|, |v8|
	v_cndmask_b32_e32 v3, v0, v3, vcc
	v_max_f32_e32 v10, v11, v10
	v_lshlrev_b32_e32 v3, 2, v3
	v_max3_f32 v10, v10, |v7|, |v6|
	ds_bpermute_b32 v11, v3, v10
	v_xor_b32_e32 v9, 2, v0
	v_cmp_lt_i32_e32 vcc, v9, v2
	v_xor_b32_e32 v12, 1, v0
	s_mov_b32 s8, 0x42fe0000
	v_cndmask_b32_e32 v9, v0, v9, vcc
	v_cmp_lt_i32_e32 vcc, v12, v2
	s_waitcnt lgkmcnt(0)
	v_max_f32_e32 v2, v11, v11
	v_lshlrev_b32_e32 v9, 2, v9
	v_max_f32_e32 v2, v10, v2
	ds_bpermute_b32 v10, v9, v2
	v_add_f32_e32 v11, v8, v1
	v_add_f32_e32 v11, v11, v7
	v_cndmask_b32_e32 v0, v0, v12, vcc
	v_add_f32_e32 v11, v11, v6
	s_waitcnt lgkmcnt(0)
	v_max_f32_e32 v10, v10, v10
	v_lshlrev_b32_e32 v0, 2, v0
	ds_bpermute_b32 v3, v3, v11
	v_max_f32_e32 v2, v2, v10
	ds_bpermute_b32 v10, v0, v2
	s_waitcnt lgkmcnt(1)
	v_add_f32_e32 v3, v11, v3
	ds_bpermute_b32 v11, v9, v3
	s_waitcnt lgkmcnt(1)
	v_max_f32_e32 v9, v10, v10
	v_max_f32_e32 v10, v2, v9
	v_div_scale_f32 v12, s[6:7], s8, s8, v10
	v_rcp_f32_e32 v13, v12
	s_waitcnt lgkmcnt(0)
	v_add_f32_e32 v2, v3, v11
	ds_bpermute_b32 v3, v0, v2
	v_mov_b32_e32 v9, 0
	v_fma_f32 v0, -v12, v13, 1.0
	v_fmac_f32_e32 v13, v0, v13
	v_div_scale_f32 v0, vcc, v10, s8, v10
	v_mul_f32_e32 v11, v0, v13
	v_fma_f32 v14, -v12, v11, v0
	v_fmac_f32_e32 v11, v14, v13
	v_fma_f32 v0, -v12, v11, v0
	v_div_fmas_f32 v0, v0, v13, v11
	v_div_fixup_f32 v0, v0, s8, v10
	v_cmp_neq_f32_e32 vcc, 0, v0
	s_and_saveexec_b64 s[6:7], vcc
	s_cbranch_execz .LBB9_20
; %bb.19:
	v_div_scale_f32 v9, s[8:9], v0, v0, v8
	v_rcp_f32_e32 v10, v9
	v_div_scale_f32 v11, vcc, v8, v0, v8
	s_brev_b32 s12, -2
	v_fma_f32 v12, -v9, v10, 1.0
	v_fmac_f32_e32 v10, v12, v10
	v_mul_f32_e32 v12, v11, v10
	v_fma_f32 v13, -v9, v12, v11
	v_fmac_f32_e32 v12, v13, v10
	v_fma_f32 v9, -v9, v12, v11
	v_div_fmas_f32 v9, v9, v10, v12
	v_div_fixup_f32 v8, v9, v0, v8
	v_trunc_f32_e32 v9, v8
	v_sub_f32_e32 v10, v8, v9
	v_cmp_ge_f32_e64 s[8:9], |v10|, 0.5
	s_nop 1
	v_cndmask_b32_e64 v10, 0, 1.0, s[8:9]
	v_div_scale_f32 v11, s[8:9], v0, v0, v1
	v_rcp_f32_e32 v12, v11
	v_bfi_b32 v8, s12, v10, v8
	v_add_f32_e32 v8, v9, v8
	v_cvt_i32_f32_e32 v8, v8
	v_fma_f32 v9, -v11, v12, 1.0
	v_fmac_f32_e32 v12, v9, v12
	v_div_scale_f32 v9, vcc, v1, v0, v1
	v_mul_f32_e32 v10, v9, v12
	v_fma_f32 v13, -v11, v10, v9
	v_fmac_f32_e32 v10, v13, v12
	v_fma_f32 v9, -v11, v10, v9
	v_div_fmas_f32 v9, v9, v12, v10
	v_div_fixup_f32 v1, v9, v0, v1
	v_trunc_f32_e32 v9, v1
	v_div_scale_f32 v11, s[8:9], v0, v0, v7
	v_sub_f32_e32 v10, v1, v9
	v_rcp_f32_e32 v12, v11
	v_cmp_ge_f32_e64 s[8:9], |v10|, 0.5
	s_nop 1
	v_cndmask_b32_e64 v10, 0, 1.0, s[8:9]
	v_bfi_b32 v1, s12, v10, v1
	v_add_f32_e32 v1, v9, v1
	v_fma_f32 v9, -v11, v12, 1.0
	v_fmac_f32_e32 v12, v9, v12
	v_div_scale_f32 v9, vcc, v7, v0, v7
	v_mul_f32_e32 v10, v9, v12
	v_fma_f32 v13, -v11, v10, v9
	v_fmac_f32_e32 v10, v13, v12
	v_fma_f32 v9, -v11, v10, v9
	v_div_fmas_f32 v9, v9, v12, v10
	v_div_fixup_f32 v7, v9, v0, v7
	v_trunc_f32_e32 v9, v7
	v_sub_f32_e32 v10, v7, v9
	v_cmp_ge_f32_e64 s[8:9], |v10|, 0.5
	v_cvt_i32_f32_e32 v1, v1
	s_nop 0
	v_cndmask_b32_e64 v10, 0, 1.0, s[8:9]
	v_div_scale_f32 v11, s[8:9], v0, v0, v6
	v_rcp_f32_e32 v12, v11
	v_bfi_b32 v7, s12, v10, v7
	v_add_f32_e32 v7, v9, v7
	v_cvt_i32_f32_e32 v7, v7
	v_fma_f32 v9, -v11, v12, 1.0
	v_fmac_f32_e32 v12, v9, v12
	v_div_scale_f32 v9, vcc, v6, v0, v6
	v_mul_f32_e32 v10, v9, v12
	v_fma_f32 v13, -v11, v10, v9
	v_fmac_f32_e32 v10, v13, v12
	v_fma_f32 v9, -v11, v10, v9
	v_div_fmas_f32 v9, v9, v12, v10
	v_div_fixup_f32 v6, v9, v0, v6
	v_trunc_f32_e32 v9, v6
	v_sub_f32_e32 v10, v6, v9
	v_cmp_ge_f32_e64 s[8:9], |v10|, 0.5
	v_and_b32_e32 v7, 0xff, v7
	v_lshlrev_b32_e32 v7, 16, v7
	v_cndmask_b32_e64 v10, 0, 1.0, s[8:9]
	v_bfi_b32 v6, s12, v10, v6
	v_add_f32_e32 v6, v9, v6
	v_cvt_i32_f32_e32 v6, v6
	v_lshl_or_b32 v6, v6, 24, v7
	v_mov_b32_e32 v7, 8
	v_lshlrev_b32_sdwa v1, v7, v1 dst_sel:DWORD dst_unused:UNUSED_PAD src0_sel:DWORD src1_sel:BYTE_0
	v_and_b32_e32 v7, 0xff, v8
	v_or3_b32 v9, v6, v1, v7
.LBB9_20:
	s_or_b64 exec, exec, s[6:7]
	v_and_b32_e32 v6, 0x77, v72
	v_lshl_add_u32 v1, v72, 2, v5
	v_cmp_eq_u32_e32 vcc, 0, v6
	ds_write_b32 v1, v9
	s_and_saveexec_b64 s[6:7], vcc
	s_cbranch_execz .LBB9_22
; %bb.21:
	s_waitcnt lgkmcnt(1)
	v_add_f32_e32 v1, v2, v3
	v_add_u32_e32 v2, v5, v72
	ds_write_b64 v2, v[0:1] offset:64
.LBB9_22:
	s_or_b64 exec, exec, s[6:7]
.LBB9_23:
	s_or_b64 exec, exec, s[4:5]
	v_and_b32_e32 v8, 3, v72
	v_lshlrev_b32_e32 v9, 2, v8
	s_waitcnt lgkmcnt(0)
	s_barrier
	ds_read2_b32 v[20:21], v9 offset1:4
	ds_read2_b32 v[22:23], v9 offset0:8 offset1:12
	ds_read2_b32 v[24:25], v9 offset0:32 offset1:36
	ds_read_b128 v[0:3], v4 offset:64
	ds_read_b128 v[4:7], v4 offset:192
	ds_read2_b32 v[26:27], v9 offset0:40 offset1:44
	s_cmp_eq_u64 s[46:47], 0
	s_mov_b32 s21, s54
	s_waitcnt lgkmcnt(0)
	s_barrier
	s_cbranch_scc1 .LBB9_25
; %bb.24:
	s_load_dword s4, s[0:1], 0xd0
	s_mov_b32 s5, 0
	s_waitcnt lgkmcnt(0)
	s_mul_i32 s4, s4, s68
	s_add_i32 s4, s4, s2
	s_lshl_b64 s[4:5], s[4:5], 2
	s_add_u32 s4, s46, s4
	s_addc_u32 s5, s47, s5
	s_load_dword s21, s[4:5], 0x0
.LBB9_25:
	v_lshlrev_b32_e32 v9, 5, v73
	s_mov_b32 s4, 0xfeffffff
	s_mov_b32 s25, 0
	v_add_u32_e32 v74, v9, v72
	s_lshl_b32 s22, s3, 7
	s_mov_b32 s5, s4
	s_mov_b32 s24, s25
	s_waitcnt lgkmcnt(0)
	s_cmp_ge_i32 s22, s21
	v_mov_b64_e32 v[16:17], s[24:25]
	v_mov_b64_e32 v[18:19], s[4:5]
	v_lshlrev_b32_e32 v76, 2, v72
	v_mbcnt_lo_u32_b32 v78, -1, 0
	v_lshlrev_b32_e32 v75, 1, v74
	s_cbranch_scc1 .LBB9_45
; %bb.26:
	s_sub_i32 s2, 0, s23
	s_sub_i32 s4, 0, s10
	s_mul_i32 s2, s2, s27
	s_mul_i32 s4, s4, s13
	s_mul_hi_u32 s2, s27, s2
	s_mul_hi_u32 s4, s13, s4
	s_add_i32 s27, s27, s2
	s_add_i32 s2, s13, s4
	s_load_dwordx2 s[62:63], s[0:1], 0x8c
	s_load_dwordx4 s[12:15], s[0:1], 0x98
	s_abs_i32 s5, s20
	s_abs_i32 s6, s68
	s_mul_hi_u32 s4, s5, s27
	s_mul_hi_u32 s7, s6, s2
	s_ashr_i32 s8, s20, 31
	s_ashr_i32 s9, s26, 31
	;; [unrolled: 1-line block ×3, first 2 shown]
	s_waitcnt lgkmcnt(0)
	s_mul_i32 s13, s68, s13
	s_mul_i32 s26, s2, s12
	s_xor_b32 s8, s8, s9
	s_mul_i32 s9, s4, s23
	s_mul_hi_u32 s24, s68, s12
	s_add_i32 s64, s13, s26
	s_sub_i32 s5, s5, s9
	s_add_i32 s69, s64, s24
	s_add_i32 s9, s4, 1
	s_sub_i32 s13, s5, s23
	s_cmp_ge_u32 s5, s23
	s_cselect_b32 s4, s9, s4
	s_cselect_b32 s5, s13, s5
	s_add_i32 s9, s4, 1
	s_cmp_ge_u32 s5, s23
	s_cselect_b32 s4, s9, s4
	s_xor_b32 s4, s4, s8
	s_sub_i32 s4, s4, s8
	s_mul_i32 s7, s7, s10
	s_mul_i32 s58, s4, s63
	;; [unrolled: 1-line block ×3, first 2 shown]
	s_sub_i32 s4, s6, s7
	s_ashr_i32 s59, s58, 31
	s_ashr_i32 s57, s56, 31
	s_sub_i32 s5, s4, s10
	s_cmp_ge_u32 s4, s10
	s_cselect_b32 s4, s5, s4
	s_sub_i32 s5, s4, s10
	s_cmp_ge_u32 s4, s10
	s_cselect_b32 s6, s5, s4
	s_load_dwordx2 s[60:61], s[0:1], 0xa8
	s_load_dwordx2 s[4:5], s[0:1], 0xc8
	s_xor_b32 s6, s6, s2
	s_sub_i32 s71, s6, s2
	s_load_dword s8, s[0:1], 0xd4
	s_ashr_i32 s6, s71, 31
	s_waitcnt lgkmcnt(0)
	s_mul_i32 s5, s71, s5
	s_mul_hi_u32 s7, s71, s4
	s_add_i32 s15, s7, s5
	s_mul_i32 s6, s6, s4
	s_mul_i32 s26, s33, s11
	v_and_b32_e32 v10, 0x7c, v72
	v_mbcnt_hi_u32_b32 v14, -1, v78
	s_add_i32 s15, s15, s6
	s_ashr_i32 s27, s26, 31
	v_add_u32_e32 v18, v9, v10
	v_and_b32_e32 v10, 0x7c, v14
	v_add_u32_e32 v10, 4, v10
	v_xor_b32_e32 v11, 2, v14
	s_cmp_lg_u64 s[42:43], 0
	v_cmp_lt_i32_e32 vcc, v11, v10
	s_cselect_b64 s[6:7], -1, 0
	s_lshl_b32 s30, s8, 7
	v_cndmask_b32_e32 v11, v14, v11, vcc
	s_cmp_lt_i32 s33, s18
	v_lshlrev_b32_e32 v79, 2, v11
	v_xor_b32_e32 v11, 1, v14
	s_cselect_b64 s[8:9], -1, 0
	v_cmp_lt_i32_e32 vcc, v11, v10
	s_and_b64 s[46:47], s[6:7], s[8:9]
	s_or_b32 s8, s33, 1
	v_cndmask_b32_e32 v10, v14, v11, vcc
	s_cmp_lt_i32 s8, s18
	v_lshlrev_b32_e32 v80, 2, v10
	v_and_b32_e32 v10, 0x60, v14
	s_cselect_b64 s[8:9], -1, 0
	s_mul_i32 s71, s71, s4
	v_add_u32_e32 v15, 32, v10
	v_cmp_eq_u32_e64 s[4:5], 0, v8
	s_and_b64 s[52:53], s[6:7], s[8:9]
	v_cmp_eq_u32_e64 s[6:7], 1, v8
	v_cmp_eq_u32_e64 s[8:9], 2, v8
	;; [unrolled: 1-line block ×3, first 2 shown]
	v_xor_b32_e32 v8, 4, v14
	v_cmp_lt_i32_e32 vcc, v8, v15
	v_lshrrev_b32_e32 v19, 3, v72
	v_mul_lo_u32 v48, v18, s62
	v_cndmask_b32_e32 v8, v14, v8, vcc
	v_lshlrev_b32_e32 v81, 2, v8
	v_xor_b32_e32 v8, 8, v14
	v_cmp_lt_i32_e32 vcc, v8, v15
	v_add_u32_e32 v42, s62, v48
	v_add_u32_e32 v36, s62, v42
	v_cndmask_b32_e32 v8, v14, v8, vcc
	v_lshlrev_b32_e32 v82, 2, v8
	v_xor_b32_e32 v8, 16, v14
	v_cmp_lt_i32_e32 vcc, v8, v15
	v_add_u32_e32 v64, v9, v19
	s_ashr_i32 s55, s54, 31
	v_cndmask_b32_e32 v8, v14, v8, vcc
	v_lshlrev_b32_e32 v83, 2, v8
	v_or_b32_e32 v8, v9, v19
	v_lshlrev_b32_e32 v84, 1, v8
	v_mov_b32_e32 v8, 0x100
	s_mul_i32 s28, s22, s62
	v_and_b32_e32 v16, 12, v76
	v_mov_b32_e32 v17, 0
	s_mul_i32 s34, s30, s62
	v_add_u32_e32 v12, s62, v36
	v_lshl_add_u32 v85, v64, 1, v8
	v_mov_b32_e32 v8, s12
	s_add_u32 s62, s38, s58
	s_mul_i32 s70, s68, s12
	v_mad_u64_u32 v[44:45], s[12:13], s68, v8, v[16:17]
	s_addc_u32 s63, s39, s59
	s_mov_b32 s23, s25
	s_add_u32 s12, s62, s70
	s_addc_u32 s13, s63, s69
	s_lshl_b64 s[66:67], s[22:23], 1
	v_mov_b32_e32 v19, v17
	s_add_u32 s23, s42, s66
	v_add_u32_e32 v10, s54, v18
	v_ashrrev_i32_e32 v13, 31, v12
	v_lshl_add_u64 v[46:47], v[18:19], 0, s[54:55]
	v_add_u32_e32 v45, s64, v45
	s_addc_u32 s54, s43, s67
	v_ashrrev_i32_e32 v37, 31, v36
	v_lshl_add_u64 v[8:9], v[44:45], 0, v[12:13]
	s_add_u32 s64, s23, s71
	v_ashrrev_i32_e32 v11, 31, v10
	v_lshl_add_u64 v[28:29], s[62:63], 0, v[8:9]
	v_lshl_add_u64 v[8:9], v[44:45], 0, v[36:37]
	s_addc_u32 s65, s54, s15
	v_lshl_add_u64 v[30:31], s[12:13], 0, v[12:13]
	v_lshl_add_u64 v[32:33], s[62:63], 0, v[8:9]
	;; [unrolled: 1-line block ×3, first 2 shown]
	scratch_load_dwordx4 v[12:15], off, off
	scratch_load_dwordx4 v[8:11], off, off offset:16
	s_mov_b32 s31, s25
	s_lshl_b64 s[54:55], s[30:31], 1
	s_add_u32 s23, s71, s66
	s_addc_u32 s15, s15, s67
	s_add_u32 s42, s42, s23
	v_ashrrev_i32_e32 v43, 31, v42
	s_addc_u32 s43, s43, s15
	v_lshl_add_u64 v[36:37], s[12:13], 0, v[36:37]
	v_lshl_add_u64 v[38:39], v[44:45], 0, v[42:43]
	;; [unrolled: 1-line block ×3, first 2 shown]
	s_add_u32 s12, s70, s58
	s_addc_u32 s13, s69, s59
	v_ashrrev_i32_e32 v49, 31, v48
	v_lshlrev_b32_e32 v16, 1, v18
	v_lshl_add_u64 v[18:19], v[44:45], 0, s[58:59]
	s_add_u32 s12, s38, s12
	v_lshl_add_u64 v[18:19], v[18:19], 0, v[48:49]
	s_addc_u32 s13, s39, s13
	v_lshl_add_u64 v[40:41], s[42:43], 0, v[16:17]
	v_lshl_add_u64 v[44:45], s[38:39], 0, v[18:19]
	v_lshl_add_u64 v[18:19], s[12:13], 0, v[48:49]
	v_and_b32_e32 v16, 7, v72
	v_lshl_add_u64 v[48:49], v[18:19], 0, 18
	v_lshlrev_b32_e32 v16, 4, v16
	s_mul_i32 s12, s68, s61
	s_mul_i32 s2, s2, s60
	v_mov_b32_e32 v18, s60
	s_add_i32 s2, s12, s2
	v_mad_u64_u32 v[18:19], s[12:13], s68, v18, v[16:17]
	v_add_u32_e32 v16, 28, v64
	v_mul_lo_u32 v50, s14, v16
	v_add_u32_e32 v16, 24, v64
	v_mul_lo_u32 v52, s14, v16
	v_add_u32_e32 v16, 20, v64
	v_add_u32_e32 v19, s2, v19
	v_mul_lo_u32 v54, s14, v16
	v_add_u32_e32 v16, 16, v64
	v_mul_lo_u32 v60, s14, v64
	v_mul_lo_u32 v56, s14, v16
	v_lshl_add_u64 v[58:59], v[18:19], 0, s[56:57]
	v_ashrrev_i32_e32 v61, 31, v60
	v_add_u32_e32 v16, 12, v64
	v_lshl_add_u64 v[58:59], v[58:59], 0, v[60:61]
	v_mul_lo_u32 v60, s14, v16
	v_add_u32_e32 v16, 4, v64
	v_mul_lo_u32 v62, s14, v16
	v_add_u32_e32 v16, 8, v64
	v_mul_lo_u32 v64, s14, v16
	v_ashrrev_i32_e32 v51, 31, v50
	s_add_u32 s12, s40, s56
	v_ashrrev_i32_e32 v53, 31, v52
	v_ashrrev_i32_e32 v55, 31, v54
	;; [unrolled: 1-line block ×6, first 2 shown]
	v_lshl_add_u64 v[50:51], v[18:19], 0, v[50:51]
	s_addc_u32 s13, s41, s57
	v_lshl_add_u64 v[52:53], v[18:19], 0, v[52:53]
	v_lshl_add_u64 v[54:55], v[18:19], 0, v[54:55]
	;; [unrolled: 1-line block ×7, first 2 shown]
	v_mov_b32_e32 v18, 0xfeffffff
	s_mul_i32 s24, s22, s14
	s_mov_b32 s29, s25
	s_mov_b32 s35, s25
	s_mul_i32 s36, s30, s14
	s_mov_b32 s37, s25
	v_lshl_add_u64 v[38:39], s[62:63], 0, v[38:39]
	v_lshl_add_u64 v[46:47], v[46:47], 1, s[64:65]
	;; [unrolled: 1-line block ×9, first 2 shown]
	s_mov_b32 s2, 0x3fb8aa3b
	s_mov_b32 s23, 0xc2ce8ed0
	;; [unrolled: 1-line block ×3, first 2 shown]
	v_mov_b32_e32 v86, 0x7f800000
	v_mov_b32_e32 v16, v17
	;; [unrolled: 1-line block ×3, first 2 shown]
                                        ; implicit-def: $vgpr66
	s_branch .LBB9_28
.LBB9_27:                               ;   in Loop: Header=BB9_28 Depth=1
	v_cndmask_b32_e64 v66, v66, v87, s[4:5]
	v_cndmask_b32_e64 v67, v67, v88, s[4:5]
	v_add_f32_e32 v69, 0x40051340, v87
	v_add_f32_e32 v87, 0x40051340, v88
	;; [unrolled: 1-line block ×3, first 2 shown]
	v_cndmask_b32_e64 v66, v66, v89, s[6:7]
	v_add_f32_e32 v70, 0x40051340, v89
	v_max3_f32 v87, v19, v87, v88
	v_add_f32_e32 v88, 0x40051340, v93
	v_add_f32_e32 v89, 0x40051340, v68
	v_max3_f32 v69, v18, v69, v70
	v_add_f32_e32 v70, 0x40051340, v92
	v_add_f32_e32 v71, 0x40051340, v91
	v_max3_f32 v87, v87, v88, v89
	ds_bpermute_b32 v88, v81, v87
	v_max3_f32 v69, v69, v70, v71
	ds_bpermute_b32 v89, v81, v69
	v_mov_b32_e32 v70, v18
	v_cndmask_b32_e64 v67, v67, v90, s[6:7]
	s_waitcnt lgkmcnt(1)
	v_max_f32_e32 v18, v88, v88
	v_max_f32_e32 v87, v87, v18
	s_waitcnt lgkmcnt(0)
	v_max_f32_e32 v18, v89, v89
	ds_bpermute_b32 v88, v82, v87
	v_max_f32_e32 v69, v69, v18
	ds_bpermute_b32 v89, v82, v69
	v_mov_b32_e32 v71, v19
	v_lshl_add_u64 v[18:19], v[58:59], 0, s[24:25]
	v_cndmask_b32_e64 v66, v66, v92, s[8:9]
	v_cndmask_b32_e64 v67, v67, v93, s[8:9]
	global_load_dwordx4 v[92:95], v[18:19], off
	s_waitcnt lgkmcnt(1)
	v_max_f32_e32 v18, v88, v88
	v_max_f32_e32 v18, v87, v18
	s_waitcnt lgkmcnt(0)
	v_max_f32_e32 v19, v89, v89
	ds_bpermute_b32 v87, v83, v18
	v_max_f32_e32 v69, v69, v19
	ds_bpermute_b32 v88, v83, v69
	v_cndmask_b32_e64 v67, v67, v68, s[10:11]
	v_cndmask_b32_e64 v66, v66, v91, s[10:11]
	s_waitcnt lgkmcnt(1)
	v_max_f32_e32 v19, v87, v87
	v_max_f32_e32 v19, v18, v19
	s_waitcnt lgkmcnt(0)
	v_max_f32_e32 v18, v88, v88
	v_max_f32_e32 v18, v69, v18
	v_pk_add_f32 v[66:67], v[66:67], v[18:19] neg_lo:[0,1] neg_hi:[0,1]
	s_add_i32 s22, s22, s30
	v_mul_f32_e32 v68, 0x3fb8aa3b, v67
	v_fma_f32 v69, v67, s2, -v68
	v_rndne_f32_e32 v87, v68
	v_fmac_f32_e32 v69, 0x32a5705f, v67
	v_sub_f32_e32 v68, v68, v87
	v_add_f32_e32 v68, v68, v69
	v_exp_f32_e32 v68, v68
	v_cvt_i32_f32_e32 v69, v87
	v_cmp_ngt_f32_e32 vcc, s23, v67
	v_lshl_add_u64 v[28:29], v[28:29], 0, s[34:35]
	v_lshl_add_u64 v[30:31], v[30:31], 0, s[34:35]
	v_ldexp_f32 v68, v68, v69
	v_mul_f32_e32 v69, 0x3fb8aa3b, v66
	v_fma_f32 v87, v66, s2, -v69
	v_rndne_f32_e32 v88, v69
	v_fmac_f32_e32 v87, 0x32a5705f, v66
	v_sub_f32_e32 v69, v69, v88
	v_add_f32_e32 v69, v69, v87
	v_exp_f32_e32 v69, v69
	v_cvt_i32_f32_e32 v87, v88
	v_cndmask_b32_e32 v68, 0, v68, vcc
	v_cmp_nlt_f32_e32 vcc, s31, v67
	v_pk_add_f32 v[88:89], v[70:71], v[18:19] neg_lo:[0,1] neg_hi:[0,1]
	v_lshl_add_u64 v[32:33], v[32:33], 0, s[34:35]
	v_cndmask_b32_e32 v67, v86, v68, vcc
	v_ldexp_f32 v68, v69, v87
	v_cmp_ngt_f32_e32 vcc, s23, v66
	v_mul_f32_e32 v69, 0x3fb8aa3b, v89
	v_fma_f32 v70, v89, s2, -v69
	v_cndmask_b32_e32 v68, 0, v68, vcc
	v_cmp_nlt_f32_e32 vcc, s31, v66
	v_rndne_f32_e32 v71, v69
	v_fmac_f32_e32 v70, 0x32a5705f, v89
	v_cndmask_b32_e32 v66, v86, v68, vcc
	v_cvt_f16_f32_e32 v68, v66
	v_sub_f32_e32 v69, v69, v71
	v_add_f32_e32 v69, v69, v70
	v_exp_f32_e32 v87, v69
	ds_write_b16 v75, v68
	v_lshl_add_u64 v[68:69], v[62:63], 0, s[24:25]
	v_cvt_i32_f32_e32 v90, v71
	global_load_dwordx4 v[68:71], v[68:69], off
	v_cmp_ngt_f32_e32 vcc, s23, v89
	v_lshl_add_u64 v[34:35], v[34:35], 0, s[54:55]
	v_ldexp_f32 v87, v87, v90
	v_mul_f32_e32 v90, 0x3fb8aa3b, v88
	v_fma_f32 v91, v88, s2, -v90
	v_rndne_f32_e32 v96, v90
	v_fmac_f32_e32 v91, 0x32a5705f, v88
	v_sub_f32_e32 v90, v90, v96
	v_add_f32_e32 v90, v90, v91
	v_exp_f32_e32 v90, v90
	v_cvt_i32_f32_e32 v91, v96
	v_cndmask_b32_e32 v87, 0, v87, vcc
	v_cmp_nlt_f32_e32 vcc, s31, v89
	v_lshl_add_u64 v[36:37], v[36:37], 0, s[34:35]
	v_lshl_add_u64 v[38:39], v[38:39], 0, s[34:35]
	v_cndmask_b32_e32 v89, v86, v87, vcc
	v_ldexp_f32 v87, v90, v91
	v_cvt_f16_f32_e32 v90, v67
	v_cmp_ngt_f32_e32 vcc, s23, v88
	v_cvt_f16_f32_e32 v96, v89
	v_lshl_add_u64 v[40:41], v[40:41], 0, s[54:55]
	v_cndmask_b32_e32 v87, 0, v87, vcc
	v_cmp_nlt_f32_e32 vcc, s31, v88
	ds_write_b16 v75, v90 offset:256
	ds_read_u16 v97, v84 offset:256
	v_cndmask_b32_e32 v88, v86, v87, vcc
	v_cvt_f16_f32_e32 v87, v88
	v_pk_fma_f32 v[16:17], v[16:17], v[88:89], v[66:67]
	s_waitcnt vmcnt(1)
	v_lshlrev_b32_e32 v88, 16, v92
	v_and_b32_e32 v89, 0xffff0000, v92
	v_cvt_f16_f32_e32 v92, v89
	v_cvt_f16_f32_e32 v98, v88
	v_lshlrev_b32_e32 v99, 16, v93
	v_and_b32_e32 v93, 0xffff0000, v93
	v_lshl_add_u64 v[88:89], v[64:65], 0, s[24:25]
	v_cvt_f16_f32_e32 v93, v93
	v_cvt_f16_f32_e32 v99, v99
	global_load_dwordx4 v[88:91], v[88:89], off
	v_lshlrev_b32_e32 v100, 16, v94
	v_and_b32_e32 v94, 0xffff0000, v94
	v_cvt_f16_f32_e32 v94, v94
	v_cvt_f16_f32_e32 v100, v100
	v_lshlrev_b32_e32 v101, 16, v95
	v_and_b32_e32 v95, 0xffff0000, v95
	v_cvt_f16_f32_e32 v95, v95
	v_cvt_f16_f32_e32 v101, v101
	v_pack_b32_f16 v98, v98, v92
	v_pack_b32_f16 v99, v99, v93
	ds_read_u16 v102, v84
	ds_read_u16 v103, v84 offset:8
	ds_read_u16 v104, v84 offset:16
	;; [unrolled: 1-line block ×7, first 2 shown]
	s_waitcnt lgkmcnt(7)
	v_pk_mul_f16 v92, v102, v98 op_sel_hi:[0,1]
	v_pk_mul_f16 v98, v97, v98 op_sel_hi:[0,1]
	v_pk_fma_f16 v98, v96, v8, v98 op_sel_hi:[0,1,1]
	v_pk_mul_f16 v8, v102, v99 op_sel_hi:[0,1]
	v_pack_b32_f16 v100, v100, v94
	v_pk_fma_f16 v12, v87, v12, v92 op_sel_hi:[0,1,1]
	v_lshl_add_u64 v[92:93], v[60:61], 0, s[24:25]
	v_pk_fma_f16 v13, v87, v13, v8 op_sel_hi:[0,1,1]
	v_pk_mul_f16 v8, v97, v99 op_sel_hi:[0,1]
	v_pack_b32_f16 v101, v101, v95
	global_load_dwordx4 v[92:95], v[92:93], off
	v_pk_fma_f16 v99, v96, v9, v8 op_sel_hi:[0,1,1]
	v_pk_mul_f16 v8, v102, v100 op_sel_hi:[0,1]
	v_pk_fma_f16 v14, v87, v14, v8 op_sel_hi:[0,1,1]
	v_pk_mul_f16 v8, v97, v100 op_sel_hi:[0,1]
	;; [unrolled: 2-line block ×4, first 2 shown]
	v_pk_fma_f16 v87, v96, v11, v8 op_sel_hi:[0,1,1]
	ds_read_u16 v110, v85 offset:16
	ds_read_u16 v111, v85 offset:24
	;; [unrolled: 1-line block ×7, first 2 shown]
	v_lshl_add_u64 v[42:43], v[42:43], 0, s[34:35]
	v_lshl_add_u64 v[44:45], v[44:45], 0, s[34:35]
	;; [unrolled: 1-line block ×7, first 2 shown]
	s_cmp_ge_i32 s22, s21
	v_lshl_add_u64 v[64:65], v[64:65], 0, s[36:37]
	s_waitcnt vmcnt(2)
	v_lshlrev_b32_e32 v8, 16, v68
	v_and_b32_e32 v9, 0xffff0000, v68
	v_cvt_f16_f32_e32 v68, v9
	v_cvt_f16_f32_e32 v96, v8
	v_lshlrev_b32_e32 v8, 16, v69
	v_and_b32_e32 v9, 0xffff0000, v69
	v_cvt_f16_f32_e32 v69, v9
	v_cvt_f16_f32_e32 v97, v8
	v_lshl_add_u64 v[8:9], v[56:57], 0, s[24:25]
	global_load_dwordx4 v[8:11], v[8:9], off
	v_lshlrev_b32_e32 v102, 16, v71
	v_and_b32_e32 v71, 0xffff0000, v71
	v_lshlrev_b32_e32 v101, 16, v70
	v_and_b32_e32 v70, 0xffff0000, v70
	v_cvt_f16_f32_e32 v71, v71
	v_cvt_f16_f32_e32 v102, v102
	;; [unrolled: 1-line block ×4, first 2 shown]
	v_pack_b32_f16 v68, v96, v68
	v_pack_b32_f16 v69, v97, v69
	;; [unrolled: 1-line block ×3, first 2 shown]
	s_waitcnt lgkmcnt(13)
	v_pk_fma_f16 v96, v103, v68, v12 op_sel_hi:[0,1,1]
	v_pk_fma_f16 v97, v103, v69, v13 op_sel_hi:[0,1,1]
	v_pack_b32_f16 v70, v101, v70
	s_waitcnt lgkmcnt(1)
	v_pk_fma_f16 v69, v115, v69, v99 op_sel_hi:[0,1,1]
	v_pk_fma_f16 v99, v103, v71, v15 op_sel_hi:[0,1,1]
	;; [unrolled: 1-line block ×6, first 2 shown]
	v_lshl_add_u64 v[56:57], v[56:57], 0, s[36:37]
	s_waitcnt vmcnt(2)
	v_lshlrev_b32_e32 v12, 16, v88
	v_and_b32_e32 v13, 0xffff0000, v88
	v_cvt_f16_f32_e32 v87, v13
	v_cvt_f16_f32_e32 v88, v12
	v_lshlrev_b32_e32 v12, 16, v89
	v_and_b32_e32 v13, 0xffff0000, v89
	v_lshlrev_b32_e32 v101, 16, v90
	v_and_b32_e32 v90, 0xffff0000, v90
	v_lshlrev_b32_e32 v102, 16, v91
	v_and_b32_e32 v91, 0xffff0000, v91
	v_cvt_f16_f32_e32 v89, v13
	v_cvt_f16_f32_e32 v100, v12
	v_lshl_add_u64 v[12:13], v[54:55], 0, s[24:25]
	v_cvt_f16_f32_e32 v90, v90
	v_cvt_f16_f32_e32 v101, v101
	;; [unrolled: 1-line block ×4, first 2 shown]
	global_load_dwordx4 v[12:15], v[12:13], off
	v_pack_b32_f16 v87, v88, v87
	v_pack_b32_f16 v88, v100, v89
	v_pack_b32_f16 v89, v101, v90
	v_pack_b32_f16 v90, v102, v91
	v_pk_fma_f16 v91, v104, v87, v96 op_sel_hi:[0,1,1]
	v_pk_fma_f16 v87, v110, v87, v68 op_sel_hi:[0,1,1]
	s_waitcnt vmcnt(2)
	v_lshlrev_b32_e32 v68, 16, v92
	v_pk_fma_f16 v96, v104, v88, v97 op_sel_hi:[0,1,1]
	v_pk_fma_f16 v88, v110, v88, v69 op_sel_hi:[0,1,1]
	;; [unrolled: 1-line block ×4, first 2 shown]
	v_and_b32_e32 v69, 0xffff0000, v92
	v_cvt_f16_f32_e32 v99, v68
	v_lshlrev_b32_e32 v100, 16, v93
	v_and_b32_e32 v68, 0xffff0000, v93
	v_cvt_f16_f32_e32 v92, v69
	v_cvt_f16_f32_e32 v93, v68
	v_lshl_add_u64 v[68:69], v[52:53], 0, s[24:25]
	v_cvt_f16_f32_e32 v100, v100
	v_lshlrev_b32_e32 v101, 16, v94
	v_and_b32_e32 v94, 0xffff0000, v94
	v_lshlrev_b32_e32 v102, 16, v95
	v_and_b32_e32 v95, 0xffff0000, v95
	v_pk_fma_f16 v89, v110, v89, v70 op_sel_hi:[0,1,1]
	v_pk_fma_f16 v90, v110, v90, v71 op_sel_hi:[0,1,1]
	global_load_dwordx4 v[68:71], v[68:69], off
	v_cvt_f16_f32_e32 v94, v94
	v_cvt_f16_f32_e32 v101, v101
	;; [unrolled: 1-line block ×4, first 2 shown]
	v_pack_b32_f16 v92, v99, v92
	v_pack_b32_f16 v93, v100, v93
	;; [unrolled: 1-line block ×4, first 2 shown]
	v_pk_fma_f16 v99, v105, v92, v91 op_sel_hi:[0,1,1]
	v_pk_fma_f16 v87, v111, v92, v87 op_sel_hi:[0,1,1]
	;; [unrolled: 1-line block ×4, first 2 shown]
	s_waitcnt vmcnt(2)
	v_lshlrev_b32_e32 v88, 16, v8
	v_pk_fma_f16 v96, v105, v94, v97 op_sel_hi:[0,1,1]
	v_pk_fma_f16 v94, v111, v94, v89 op_sel_hi:[0,1,1]
	;; [unrolled: 1-line block ×3, first 2 shown]
	v_cvt_f16_f32_e32 v98, v88
	v_lshl_add_u64 v[88:89], v[50:51], 0, s[24:25]
	v_pk_fma_f16 v95, v111, v95, v90 op_sel_hi:[0,1,1]
	global_load_dwordx4 v[88:91], v[88:89], off
	v_and_b32_e32 v8, 0xffff0000, v8
	v_lshlrev_b32_e32 v100, 16, v9
	v_and_b32_e32 v9, 0xffff0000, v9
	v_lshlrev_b32_e32 v101, 16, v10
	;; [unrolled: 2-line block ×3, first 2 shown]
	v_and_b32_e32 v11, 0xffff0000, v11
	v_cvt_f16_f32_e32 v8, v8
	v_cvt_f16_f32_e32 v9, v9
	;; [unrolled: 1-line block ×7, first 2 shown]
	v_pack_b32_f16 v8, v98, v8
	v_pack_b32_f16 v9, v100, v9
	;; [unrolled: 1-line block ×4, first 2 shown]
	v_pk_fma_f16 v98, v106, v8, v99 op_sel_hi:[0,1,1]
	s_waitcnt lgkmcnt(0)
	v_pk_fma_f16 v8, v116, v8, v87 op_sel_hi:[0,1,1]
	v_pk_fma_f16 v87, v106, v9, v92 op_sel_hi:[0,1,1]
	;; [unrolled: 1-line block ×7, first 2 shown]
	v_lshl_add_u64 v[50:51], v[50:51], 0, s[36:37]
	v_lshl_add_u64 v[52:53], v[52:53], 0, s[36:37]
	;; [unrolled: 1-line block ×3, first 2 shown]
	s_waitcnt vmcnt(2)
	v_lshlrev_b32_e32 v94, 16, v12
	v_and_b32_e32 v12, 0xffff0000, v12
	v_lshlrev_b32_e32 v95, 16, v13
	v_and_b32_e32 v13, 0xffff0000, v13
	v_lshlrev_b32_e32 v96, 16, v14
	v_and_b32_e32 v14, 0xffff0000, v14
	v_lshlrev_b32_e32 v97, 16, v15
	v_and_b32_e32 v15, 0xffff0000, v15
	v_cvt_f16_f32_e32 v12, v12
	v_cvt_f16_f32_e32 v94, v94
	v_cvt_f16_f32_e32 v13, v13
	v_cvt_f16_f32_e32 v95, v95
	v_cvt_f16_f32_e32 v14, v14
	v_cvt_f16_f32_e32 v96, v96
	v_cvt_f16_f32_e32 v15, v15
	v_cvt_f16_f32_e32 v97, v97
	v_pack_b32_f16 v12, v94, v12
	v_pack_b32_f16 v13, v95, v13
	v_pack_b32_f16 v14, v96, v14
	v_pack_b32_f16 v15, v97, v15
	v_pk_fma_f16 v94, v107, v12, v98 op_sel_hi:[0,1,1]
	v_pk_fma_f16 v8, v112, v12, v8 op_sel_hi:[0,1,1]
	v_pk_fma_f16 v12, v107, v13, v87 op_sel_hi:[0,1,1]
	v_pk_fma_f16 v9, v112, v13, v9 op_sel_hi:[0,1,1]
	v_pk_fma_f16 v13, v107, v14, v92 op_sel_hi:[0,1,1]
	v_pk_fma_f16 v10, v112, v14, v10 op_sel_hi:[0,1,1]
	v_pk_fma_f16 v14, v107, v15, v93 op_sel_hi:[0,1,1]
	v_pk_fma_f16 v11, v112, v15, v11 op_sel_hi:[0,1,1]
	s_waitcnt vmcnt(1)
	v_lshlrev_b32_e32 v15, 16, v68
	v_and_b32_e32 v68, 0xffff0000, v68
	v_lshlrev_b32_e32 v87, 16, v69
	v_and_b32_e32 v69, 0xffff0000, v69
	v_lshlrev_b32_e32 v92, 16, v70
	v_and_b32_e32 v70, 0xffff0000, v70
	v_lshlrev_b32_e32 v93, 16, v71
	v_and_b32_e32 v71, 0xffff0000, v71
	v_cvt_f16_f32_e32 v68, v68
	v_cvt_f16_f32_e32 v15, v15
	v_cvt_f16_f32_e32 v69, v69
	v_cvt_f16_f32_e32 v87, v87
	v_cvt_f16_f32_e32 v70, v70
	v_cvt_f16_f32_e32 v92, v92
	v_cvt_f16_f32_e32 v71, v71
	v_cvt_f16_f32_e32 v93, v93
	v_pack_b32_f16 v15, v15, v68
	v_pack_b32_f16 v68, v87, v69
	v_pack_b32_f16 v69, v92, v70
	v_pack_b32_f16 v70, v93, v71
	v_pk_fma_f16 v71, v108, v15, v94 op_sel_hi:[0,1,1]
	v_pk_fma_f16 v8, v113, v15, v8 op_sel_hi:[0,1,1]
	v_pk_fma_f16 v15, v108, v68, v12 op_sel_hi:[0,1,1]
	v_pk_fma_f16 v9, v113, v68, v9 op_sel_hi:[0,1,1]
	v_pk_fma_f16 v68, v108, v69, v13 op_sel_hi:[0,1,1]
	v_pk_fma_f16 v10, v113, v69, v10 op_sel_hi:[0,1,1]
	v_pk_fma_f16 v69, v108, v70, v14 op_sel_hi:[0,1,1]
	v_pk_fma_f16 v11, v113, v70, v11 op_sel_hi:[0,1,1]
	;; [unrolled: 29-line block ×3, first 2 shown]
	s_cbranch_scc1 .LBB9_44
.LBB9_28:                               ; =>This Inner Loop Header: Depth=1
	v_lshl_add_u64 v[68:69], v[44:45], 0, s[28:29]
	global_load_dword v87, v[68:69], off offset:2
	global_load_dword v88, v[68:69], off offset:20
	v_lshl_add_u64 v[68:69], v[48:49], 0, s[28:29]
	global_load_ushort v71, v[68:69], off offset:-18
	global_load_ushort v70, v[68:69], off
	v_mov_b32_e32 v68, 0
	v_mov_b32_e32 v69, 0
	;; [unrolled: 1-line block ×4, first 2 shown]
	s_and_b64 vcc, exec, s[46:47]
	s_waitcnt vmcnt(3)
	v_and_b32_e32 v91, 0xf0f0f0f, v87
	v_lshrrev_b32_e32 v87, 4, v87
	v_and_b32_e32 v90, 0xf0f0f0f, v87
	v_dot4c_i32_i8_e32 v68, v91, v20
	s_waitcnt vmcnt(2)
	v_and_b32_e32 v89, 0xf0f0f0f, v88
	v_lshrrev_b32_e32 v88, 4, v88
	v_dot4c_i32_i8_e32 v69, v90, v21
	v_cvt_f32_i32_e32 v68, v68
	v_and_b32_e32 v88, 0xf0f0f0f, v88
	v_dot4c_i32_i8_e32 v92, v89, v22
	v_cvt_f32_i32_e32 v69, v69
	v_dot4c_i32_i8_e32 v93, v88, v23
	v_fma_f32 v68, v0, v68, -v1
	v_cvt_f32_i32_e32 v87, v92
	s_waitcnt vmcnt(1)
	v_fma_mix_f32 v68, v68, v71, 0 op_sel_hi:[0,1,0]
	v_cvt_f32_i32_e32 v92, v93
	v_fma_f32 v69, v0, v69, -v1
	v_fma_f32 v87, v2, v87, -v3
	v_fma_mix_f32 v68, v69, v71, v68 op_sel_hi:[0,1,0]
	v_fma_f32 v92, v2, v92, -v3
	s_waitcnt vmcnt(0)
	v_fma_mix_f32 v68, v87, v70, v68 op_sel_hi:[0,1,0]
	v_fma_mix_f32 v68, v92, v70, v68 op_sel_hi:[0,1,0]
	ds_bpermute_b32 v69, v79, v68
	s_waitcnt lgkmcnt(0)
	v_add_f32_e32 v87, v68, v69
	ds_bpermute_b32 v92, v80, v87
	v_lshl_add_u64 v[68:69], v[40:41], 0, s[26:27]
	s_waitcnt lgkmcnt(0)
	v_add_f32_e32 v87, v87, v92
	s_cbranch_vccz .LBB9_30
; %bb.29:                               ;   in Loop: Header=BB9_28 Depth=1
	global_load_ushort v92, v[68:69], off
	s_waitcnt vmcnt(0)
	v_fma_mix_f32 v87, v77, v92, v87 op_sel_hi:[0,1,0]
.LBB9_30:                               ;   in Loop: Header=BB9_28 Depth=1
	v_mov_b32_e32 v92, 0
	v_dot4c_i32_i8_e32 v92, v91, v24
	v_cvt_f32_f16_e32 v71, v71
	v_cvt_f32_f16_e32 v70, v70
	s_andn2_b64 vcc, exec, s[52:53]
	v_cvt_f32_i32_e32 v91, v92
	v_mov_b32_e32 v92, 0
	v_dot4c_i32_i8_e32 v92, v90, v25
	v_fma_f32 v91, v4, v91, -v5
	v_fma_f32 v91, v91, v71, 0
	s_nop 0
	v_cvt_f32_i32_e32 v90, v92
	v_mov_b32_e32 v92, 0
	v_dot4c_i32_i8_e32 v92, v89, v26
	v_fma_f32 v90, v4, v90, -v5
	v_fmac_f32_e32 v91, v90, v71
	s_nop 0
	v_cvt_f32_i32_e32 v89, v92
	v_mov_b32_e32 v92, 0
	v_dot4c_i32_i8_e32 v92, v88, v27
	v_fma_f32 v71, v6, v89, -v7
	v_fmac_f32_e32 v91, v71, v70
	s_nop 0
	v_cvt_f32_i32_e32 v88, v92
	v_fma_f32 v71, v6, v88, -v7
	v_fmac_f32_e32 v91, v71, v70
	ds_bpermute_b32 v70, v79, v91
	v_cndmask_b32_e64 v88, 0, 1, s[52:53]
	v_cmp_ne_u32_e64 s[12:13], 1, v88
	s_waitcnt lgkmcnt(0)
	v_add_f32_e32 v70, v91, v70
	ds_bpermute_b32 v71, v80, v70
	s_waitcnt lgkmcnt(0)
	v_add_f32_e32 v88, v70, v71
	s_cbranch_vccnz .LBB9_32
; %bb.31:                               ;   in Loop: Header=BB9_28 Depth=1
	v_lshl_add_u64 v[70:71], v[34:35], 0, s[26:27]
	global_load_ushort v70, v[70:71], off
	s_waitcnt vmcnt(0)
	v_fma_mix_f32 v88, v77, v70, v88 op_sel_hi:[0,1,0]
.LBB9_32:                               ;   in Loop: Header=BB9_28 Depth=1
	v_lshl_add_u64 v[70:71], v[38:39], 0, s[28:29]
	global_load_dword v89, v[70:71], off offset:2
	v_lshl_add_u64 v[94:95], v[42:43], 0, s[28:29]
	global_load_ushort v92, v[94:95], off
	global_load_ushort v93, v[94:95], off offset:18
	v_mov_b32_e32 v94, 0
	global_load_dword v71, v[70:71], off offset:20
	s_andn2_b64 vcc, exec, s[46:47]
	s_waitcnt vmcnt(3)
	v_and_b32_e32 v91, 0xf0f0f0f, v89
	v_lshrrev_b32_e32 v89, 4, v89
	v_and_b32_e32 v90, 0xf0f0f0f, v89
	v_mov_b32_e32 v89, 0
	v_dot4c_i32_i8_e32 v89, v91, v20
	v_dot4c_i32_i8_e32 v94, v90, v21
	s_waitcnt vmcnt(0)
	v_and_b32_e32 v70, 0xf0f0f0f, v71
	v_lshrrev_b32_e32 v71, 4, v71
	v_cvt_f32_i32_e32 v89, v89
	v_cvt_f32_i32_e32 v94, v94
	v_and_b32_e32 v71, 0xf0f0f0f, v71
	v_fma_f32 v89, v0, v89, -v1
	v_fma_mix_f32 v89, v89, v92, 0 op_sel_hi:[0,1,0]
	v_fma_f32 v94, v0, v94, -v1
	v_fma_mix_f32 v89, v94, v92, v89 op_sel_hi:[0,1,0]
	v_mov_b32_e32 v94, 0
	v_dot4c_i32_i8_e32 v94, v70, v22
	s_nop 2
	v_cvt_f32_i32_e32 v94, v94
	v_fma_f32 v94, v2, v94, -v3
	v_fma_mix_f32 v89, v94, v93, v89 op_sel_hi:[0,1,0]
	v_mov_b32_e32 v94, 0
	v_dot4c_i32_i8_e32 v94, v71, v23
	s_nop 2
	v_cvt_f32_i32_e32 v94, v94
	v_fma_f32 v94, v2, v94, -v3
	v_fma_mix_f32 v89, v94, v93, v89 op_sel_hi:[0,1,0]
	ds_bpermute_b32 v94, v79, v89
	s_waitcnt lgkmcnt(0)
	v_add_f32_e32 v89, v89, v94
	ds_bpermute_b32 v94, v80, v89
	s_waitcnt lgkmcnt(0)
	v_add_f32_e32 v89, v89, v94
	v_cndmask_b32_e64 v94, 0, 1, s[46:47]
	v_cmp_ne_u32_e64 s[14:15], 1, v94
	s_cbranch_vccnz .LBB9_34
; %bb.33:                               ;   in Loop: Header=BB9_28 Depth=1
	global_load_ushort v94, v[68:69], off offset:2
	s_waitcnt vmcnt(0)
	v_fma_mix_f32 v89, v77, v94, v89 op_sel_hi:[0,1,0]
.LBB9_34:                               ;   in Loop: Header=BB9_28 Depth=1
	v_mov_b32_e32 v94, 0
	v_dot4c_i32_i8_e32 v94, v91, v24
	v_cvt_f32_f16_e32 v92, v92
	v_cvt_f32_f16_e32 v93, v93
	s_and_b64 vcc, exec, s[12:13]
	v_cvt_f32_i32_e32 v91, v94
	v_mov_b32_e32 v94, 0
	v_dot4c_i32_i8_e32 v94, v90, v25
	v_fma_f32 v91, v4, v91, -v5
	v_fma_f32 v91, v91, v92, 0
	s_nop 0
	v_cvt_f32_i32_e32 v90, v94
	v_mov_b32_e32 v94, 0
	v_dot4c_i32_i8_e32 v94, v70, v26
	v_fma_f32 v90, v4, v90, -v5
	v_fmac_f32_e32 v91, v90, v92
	s_nop 0
	v_cvt_f32_i32_e32 v70, v94
	v_mov_b32_e32 v94, 0
	v_dot4c_i32_i8_e32 v94, v71, v27
	v_fma_f32 v70, v6, v70, -v7
	v_fmac_f32_e32 v91, v70, v93
	s_nop 0
	v_cvt_f32_i32_e32 v71, v94
	v_fma_f32 v70, v6, v71, -v7
	v_fmac_f32_e32 v91, v70, v93
	ds_bpermute_b32 v70, v79, v91
	s_waitcnt lgkmcnt(0)
	v_add_f32_e32 v70, v91, v70
	ds_bpermute_b32 v71, v80, v70
	s_waitcnt lgkmcnt(0)
	v_add_f32_e32 v90, v70, v71
	v_lshl_add_u64 v[70:71], v[46:47], 0, s[26:27]
	s_cbranch_vccnz .LBB9_36
; %bb.35:                               ;   in Loop: Header=BB9_28 Depth=1
	global_load_ushort v91, v[70:71], off offset:2
	s_waitcnt vmcnt(0)
	v_fma_mix_f32 v90, v77, v91, v90 op_sel_hi:[0,1,0]
.LBB9_36:                               ;   in Loop: Header=BB9_28 Depth=1
	v_lshl_add_u64 v[92:93], v[32:33], 0, s[28:29]
	global_load_dword v96, v[92:93], off offset:2
	s_nop 0
	global_load_dword v92, v[92:93], off offset:20
	v_lshl_add_u64 v[94:95], v[36:37], 0, s[28:29]
	global_load_ushort v93, v[94:95], off
	global_load_ushort v91, v[94:95], off offset:18
	v_mov_b32_e32 v98, 0
	v_mov_b32_e32 v99, 0
	;; [unrolled: 1-line block ×4, first 2 shown]
	s_and_b64 vcc, exec, s[14:15]
	s_waitcnt vmcnt(3)
	v_and_b32_e32 v97, 0xf0f0f0f, v96
	v_lshrrev_b32_e32 v94, 4, v96
	s_waitcnt vmcnt(2)
	v_and_b32_e32 v95, 0xf0f0f0f, v92
	v_lshrrev_b32_e32 v92, 4, v92
	v_and_b32_e32 v96, 0xf0f0f0f, v94
	v_dot4c_i32_i8_e32 v98, v97, v20
	v_and_b32_e32 v94, 0xf0f0f0f, v92
	v_dot4c_i32_i8_e32 v99, v96, v21
	v_dot4c_i32_i8_e32 v100, v95, v22
	v_cvt_f32_i32_e32 v92, v98
	v_dot4c_i32_i8_e32 v101, v94, v23
	v_cvt_f32_i32_e32 v99, v99
	v_cvt_f32_i32_e32 v98, v100
	v_fma_f32 v92, v0, v92, -v1
	v_cvt_f32_i32_e32 v100, v101
	s_waitcnt vmcnt(1)
	v_fma_mix_f32 v92, v92, v93, 0 op_sel_hi:[0,1,0]
	v_fma_f32 v99, v0, v99, -v1
	v_fma_f32 v98, v2, v98, -v3
	v_fma_mix_f32 v92, v99, v93, v92 op_sel_hi:[0,1,0]
	s_waitcnt vmcnt(0)
	v_fma_mix_f32 v92, v98, v91, v92 op_sel_hi:[0,1,0]
	v_fma_f32 v98, v2, v100, -v3
	v_fma_mix_f32 v92, v98, v91, v92 op_sel_hi:[0,1,0]
	ds_bpermute_b32 v98, v79, v92
	s_waitcnt lgkmcnt(0)
	v_add_f32_e32 v92, v92, v98
	ds_bpermute_b32 v98, v80, v92
	s_waitcnt lgkmcnt(0)
	v_add_f32_e32 v92, v92, v98
	s_cbranch_vccnz .LBB9_38
; %bb.37:                               ;   in Loop: Header=BB9_28 Depth=1
	global_load_ushort v98, v[68:69], off offset:4
	s_waitcnt vmcnt(0)
	v_fma_mix_f32 v92, v77, v98, v92 op_sel_hi:[0,1,0]
.LBB9_38:                               ;   in Loop: Header=BB9_28 Depth=1
	v_mov_b32_e32 v98, 0
	v_dot4c_i32_i8_e32 v98, v97, v24
	v_cvt_f32_f16_e32 v93, v93
	v_cvt_f32_f16_e32 v91, v91
	s_and_b64 vcc, exec, s[12:13]
	v_cvt_f32_i32_e32 v97, v98
	v_mov_b32_e32 v98, 0
	v_dot4c_i32_i8_e32 v98, v96, v25
	v_fma_f32 v97, v4, v97, -v5
	v_fma_f32 v97, v97, v93, 0
	s_nop 0
	v_cvt_f32_i32_e32 v96, v98
	v_mov_b32_e32 v98, 0
	v_dot4c_i32_i8_e32 v98, v95, v26
	v_fma_f32 v96, v4, v96, -v5
	v_fmac_f32_e32 v97, v96, v93
	s_nop 0
	v_cvt_f32_i32_e32 v95, v98
	v_mov_b32_e32 v98, 0
	v_dot4c_i32_i8_e32 v98, v94, v27
	v_fma_f32 v93, v6, v95, -v7
	v_fmac_f32_e32 v97, v93, v91
	s_nop 0
	v_cvt_f32_i32_e32 v94, v98
	v_fma_f32 v93, v6, v94, -v7
	v_fmac_f32_e32 v97, v93, v91
	ds_bpermute_b32 v91, v79, v97
	s_waitcnt lgkmcnt(0)
	v_add_f32_e32 v91, v97, v91
	ds_bpermute_b32 v93, v80, v91
	s_waitcnt lgkmcnt(0)
	v_add_f32_e32 v93, v91, v93
	s_cbranch_vccnz .LBB9_40
; %bb.39:                               ;   in Loop: Header=BB9_28 Depth=1
	global_load_ushort v91, v[70:71], off offset:4
	s_waitcnt vmcnt(0)
	v_fma_mix_f32 v93, v77, v91, v93 op_sel_hi:[0,1,0]
.LBB9_40:                               ;   in Loop: Header=BB9_28 Depth=1
	v_lshl_add_u64 v[94:95], v[28:29], 0, s[28:29]
	global_load_dword v91, v[94:95], off offset:2
	global_load_dword v98, v[94:95], off offset:20
	v_lshl_add_u64 v[96:97], v[30:31], 0, s[28:29]
	global_load_ushort v95, v[96:97], off
	global_load_ushort v94, v[96:97], off offset:18
	v_mov_b32_e32 v100, 0
	v_mov_b32_e32 v101, 0
	;; [unrolled: 1-line block ×4, first 2 shown]
	s_and_b64 vcc, exec, s[14:15]
	s_waitcnt vmcnt(3)
	v_and_b32_e32 v99, 0xf0f0f0f, v91
	v_lshrrev_b32_e32 v91, 4, v91
	s_waitcnt vmcnt(2)
	v_and_b32_e32 v97, 0xf0f0f0f, v98
	v_lshrrev_b32_e32 v96, 4, v98
	v_and_b32_e32 v98, 0xf0f0f0f, v91
	v_dot4c_i32_i8_e32 v100, v99, v20
	v_dot4c_i32_i8_e32 v101, v98, v21
	v_and_b32_e32 v96, 0xf0f0f0f, v96
	v_dot4c_i32_i8_e32 v102, v97, v22
	v_cvt_f32_i32_e32 v91, v100
	v_cvt_f32_i32_e32 v101, v101
	v_dot4c_i32_i8_e32 v103, v96, v23
	v_cvt_f32_i32_e32 v100, v102
	v_fma_f32 v91, v0, v91, -v1
	s_waitcnt vmcnt(1)
	v_fma_mix_f32 v91, v91, v95, 0 op_sel_hi:[0,1,0]
	v_cvt_f32_i32_e32 v102, v103
	v_fma_f32 v101, v0, v101, -v1
	v_fma_f32 v100, v2, v100, -v3
	v_fma_mix_f32 v91, v101, v95, v91 op_sel_hi:[0,1,0]
	s_waitcnt vmcnt(0)
	v_fma_mix_f32 v91, v100, v94, v91 op_sel_hi:[0,1,0]
	v_fma_f32 v100, v2, v102, -v3
	v_fma_mix_f32 v91, v100, v94, v91 op_sel_hi:[0,1,0]
	ds_bpermute_b32 v100, v79, v91
	s_waitcnt lgkmcnt(0)
	v_add_f32_e32 v91, v91, v100
	ds_bpermute_b32 v100, v80, v91
	s_waitcnt lgkmcnt(0)
	v_add_f32_e32 v91, v91, v100
	s_cbranch_vccnz .LBB9_42
; %bb.41:                               ;   in Loop: Header=BB9_28 Depth=1
	global_load_ushort v68, v[68:69], off offset:6
	s_waitcnt vmcnt(0)
	v_fma_mix_f32 v91, v77, v68, v91 op_sel_hi:[0,1,0]
.LBB9_42:                               ;   in Loop: Header=BB9_28 Depth=1
	v_cvt_f32_f16_e32 v68, v95
	v_mov_b32_e32 v69, 0
	v_mov_b32_e32 v95, 0
	v_dot4c_i32_i8_e32 v69, v99, v24
	v_dot4c_i32_i8_e32 v95, v98, v25
	v_mov_b32_e32 v98, 0
	v_dot4c_i32_i8_e32 v98, v97, v26
	v_cvt_f32_i32_e32 v69, v69
	v_cvt_f32_i32_e32 v95, v95
	v_cvt_f32_f16_e32 v94, v94
	v_cvt_f32_i32_e32 v97, v98
	v_mov_b32_e32 v98, 0
	v_dot4c_i32_i8_e32 v98, v96, v27
	v_fma_f32 v69, v4, v69, -v5
	v_fma_f32 v69, v69, v68, 0
	v_fma_f32 v95, v4, v95, -v5
	v_cvt_f32_i32_e32 v96, v98
	v_fmac_f32_e32 v69, v95, v68
	v_fma_f32 v68, v6, v97, -v7
	v_fmac_f32_e32 v69, v68, v94
	v_fma_f32 v68, v6, v96, -v7
	v_fmac_f32_e32 v69, v68, v94
	ds_bpermute_b32 v68, v79, v69
	s_and_b64 vcc, exec, s[12:13]
	s_waitcnt lgkmcnt(0)
	v_add_f32_e32 v68, v69, v68
	ds_bpermute_b32 v69, v80, v68
	s_waitcnt lgkmcnt(0)
	v_add_f32_e32 v68, v68, v69
	s_cbranch_vccnz .LBB9_27
; %bb.43:                               ;   in Loop: Header=BB9_28 Depth=1
	global_load_ushort v69, v[70:71], off offset:6
	s_waitcnt vmcnt(0)
	v_fma_mix_f32 v68, v77, v69, v68 op_sel_hi:[0,1,0]
	s_branch .LBB9_27
.LBB9_44:
	scratch_store_dwordx4 off, v[12:15], off
	scratch_store_dwordx4 off, v[8:11], off offset:16
.LBB9_45:
	s_cmp_eq_u64 s[44:45], 0
	s_cselect_b64 s[4:5], -1, 0
	s_cmp_lg_u32 s3, 0
	s_cselect_b64 s[6:7], -1, 0
	s_or_b64 s[4:5], s[6:7], s[4:5]
	s_or_b64 s[4:5], s[16:17], s[4:5]
	s_xor_b64 s[4:5], s[4:5], -1
	s_and_saveexec_b64 s[8:9], s[4:5]
	s_cbranch_execz .LBB9_47
; %bb.46:
	v_lshlrev_b32_e32 v4, 4, v73
	scratch_load_dwordx4 v[0:3], v4, off
	s_ashr_i32 s21, s20, 31
	s_lshl_b64 s[4:5], s[20:21], 2
	s_add_u32 s4, s44, s4
	s_addc_u32 s5, s45, s5
	s_load_dword s4, s[4:5], 0x0
	v_cmp_eq_u32_e32 vcc, 1, v73
	s_mov_b32 s2, 0x3fb8aa3b
	s_mov_b32 s10, 0xc2ce8ed0
	v_cndmask_b32_e32 v5, v18, v19, vcc
	v_max_f32_e32 v7, v5, v5
	s_waitcnt lgkmcnt(0)
	v_max_f32_e64 v9, s4, s4
	v_max_f32_e32 v7, v9, v7
	v_sub_f32_e32 v5, v5, v7
	v_sub_f32_e32 v9, s4, v7
	v_mul_f32_e32 v10, 0x3fb8aa3b, v5
	v_mul_f32_e32 v11, 0x3fb8aa3b, v9
	v_fma_f32 v12, v5, s2, -v10
	v_rndne_f32_e32 v13, v10
	v_fma_f32 v14, v9, s2, -v11
	v_rndne_f32_e32 v15, v11
	v_fmac_f32_e32 v12, 0x32a5705f, v5
	v_sub_f32_e32 v10, v10, v13
	v_fmac_f32_e32 v14, 0x32a5705f, v9
	v_sub_f32_e32 v11, v11, v15
	v_add_f32_e32 v10, v10, v12
	v_cvt_i32_f32_e32 v13, v13
	v_add_f32_e32 v11, v11, v14
	v_exp_f32_e32 v10, v10
	v_cvt_i32_f32_e32 v15, v15
	v_exp_f32_e32 v11, v11
	v_cmp_eq_u32_e64 s[4:5], 0, v73
	v_cndmask_b32_e32 v19, v19, v7, vcc
	v_cmp_ngt_f32_e64 s[6:7], s10, v5
	v_cndmask_b32_e64 v18, v18, v7, s[4:5]
	v_ldexp_f32 v7, v10, v13
	s_mov_b32 s11, 0x42b17218
	v_ldexp_f32 v10, v11, v15
	v_cndmask_b32_e64 v7, 0, v7, s[6:7]
	v_cmp_ngt_f32_e64 s[6:7], s10, v9
	v_mov_b32_e32 v6, 0x7f800000
	v_cndmask_b32_e32 v8, v16, v17, vcc
	v_cndmask_b32_e64 v10, 0, v10, s[6:7]
	v_cmp_nlt_f32_e64 s[6:7], s11, v5
	s_nop 1
	v_cndmask_b32_e64 v5, v6, v7, s[6:7]
	v_cmp_nlt_f32_e64 s[6:7], s11, v9
	v_cvt_f16_f32_e32 v7, v5
	s_waitcnt vmcnt(0)
	v_pk_mul_f16 v0, v7, v0 op_sel_hi:[0,1]
	v_cndmask_b32_e64 v6, v6, v10, s[6:7]
	v_cmp_eq_u32_e64 s[6:7], 0, v72
	v_pk_mul_f16 v1, v7, v1 op_sel_hi:[0,1]
	v_pk_mul_f16 v2, v7, v2 op_sel_hi:[0,1]
	v_cndmask_b32_e64 v6, 0, v6, s[6:7]
	v_fmac_f32_e32 v6, v8, v5
	v_cndmask_b32_e32 v17, v17, v6, vcc
	v_pk_mul_f16 v3, v7, v3 op_sel_hi:[0,1]
	v_cndmask_b32_e64 v16, v16, v6, s[4:5]
	scratch_store_dwordx4 v4, v[0:3], off
.LBB9_47:
	s_or_b64 exec, exec, s[8:9]
	v_cmp_eq_u32_e32 vcc, 0, v73
	s_and_saveexec_b64 s[4:5], vcc
	s_cbranch_execz .LBB9_49
; %bb.48:
	v_mov_b32_e32 v0, 0xfeffffff
	v_add_u32_e32 v2, 0x800, v76
	v_mov_b32_e32 v1, 0
	ds_write2_b32 v2, v0, v0 offset1:32
	ds_write2_b32 v2, v1, v1 offset0:64 offset1:96
.LBB9_49:
	s_or_b64 exec, exec, s[4:5]
	v_cmp_eq_u32_e64 s[6:7], 0, v72
	s_waitcnt lgkmcnt(0)
	s_barrier
	s_and_saveexec_b64 s[4:5], s[6:7]
	s_cbranch_execz .LBB9_51
; %bb.50:
	v_lshlrev_b32_e32 v0, 2, v73
	v_add_u32_e32 v0, 0x800, v0
	ds_write2_b32 v0, v18, v19 offset1:32
.LBB9_51:
	s_or_b64 exec, exec, s[4:5]
	s_cmp_lt_i32 s33, s18
	s_waitcnt lgkmcnt(0)
	s_barrier
	s_cbranch_scc1 .LBB9_53
; %bb.52:
	s_add_u32 s8, s0, 0xd0
	s_addc_u32 s9, s1, 0
	s_mul_i32 s2, s68, s18
	s_cbranch_execz .LBB9_54
	s_branch .LBB9_66
.LBB9_53:
                                        ; implicit-def: $sgpr8_sgpr9
	s_mul_i32 s2, s68, s18
.LBB9_54:
	v_mbcnt_hi_u32_b32 v0, -1, v78
	v_and_b32_e32 v1, 0x60, v0
	ds_read_b32 v3, v76 offset:2048
	v_add_u32_e32 v1, 32, v1
	v_xor_b32_e32 v2, 16, v0
	v_cmp_lt_i32_e32 vcc, v2, v1
	scratch_load_dwordx4 v[8:11], off, off
	s_mov_b32 s4, 0x3fb8aa3b
	v_cndmask_b32_e32 v2, v0, v2, vcc
	v_lshlrev_b32_e32 v6, 2, v2
	s_waitcnt lgkmcnt(0)
	ds_bpermute_b32 v4, v6, v3
	v_xor_b32_e32 v2, 8, v0
	v_cmp_lt_i32_e32 vcc, v2, v1
	v_max_f32_e32 v3, v3, v3
	s_waitcnt lgkmcnt(0)
	v_max_f32_e32 v4, v4, v4
	v_cndmask_b32_e32 v2, v0, v2, vcc
	v_lshlrev_b32_e32 v2, 2, v2
	v_max_f32_e32 v4, v3, v4
	ds_bpermute_b32 v5, v2, v4
	v_xor_b32_e32 v3, 4, v0
	v_cmp_lt_i32_e32 vcc, v3, v1
	s_waitcnt lgkmcnt(0)
	v_max_f32_e32 v5, v5, v5
	v_cndmask_b32_e32 v3, v0, v3, vcc
	v_lshlrev_b32_e32 v3, 2, v3
	v_max_f32_e32 v5, v4, v5
	ds_bpermute_b32 v7, v3, v5
	v_xor_b32_e32 v4, 2, v0
	v_cmp_lt_i32_e32 vcc, v4, v1
	;; [unrolled: 8-line block ×3, first 2 shown]
	s_nop 1
	v_cndmask_b32_e32 v0, v0, v5, vcc
	v_lshlrev_b32_e32 v5, 2, v0
	s_waitcnt lgkmcnt(0)
	v_max_f32_e32 v0, v12, v12
	v_max_f32_e32 v0, v7, v0
	ds_bpermute_b32 v1, v5, v0
	s_waitcnt lgkmcnt(0)
	v_max_f32_e32 v1, v1, v1
	v_max_f32_e32 v0, v0, v1
	v_sub_f32_e32 v1, v18, v0
	v_mul_f32_e32 v7, 0x3fb8aa3b, v1
	v_fma_f32 v12, v1, s4, -v7
	v_rndne_f32_e32 v13, v7
	v_fmamk_f32 v12, v1, 0x32a5705f, v12
	v_sub_f32_e32 v7, v7, v13
	v_add_f32_e32 v7, v7, v12
	v_exp_f32_e32 v7, v7
	v_cvt_i32_f32_e32 v12, v13
	s_mov_b32 s4, 0xc2ce8ed0
	v_cmp_ngt_f32_e32 vcc, s4, v1
	s_mov_b32 s4, 0x42b17218
	v_ldexp_f32 v7, v7, v12
	v_cndmask_b32_e32 v7, 0, v7, vcc
	v_mov_b32_e32 v12, 0x7f800000
	v_cmp_nlt_f32_e32 vcc, s4, v1
	v_lshlrev_b32_e32 v13, 4, v72
	s_movk_i32 s4, 0x70
	v_cndmask_b32_e32 v1, v12, v7, vcc
	v_mul_f32_e32 v7, v16, v1
	ds_bpermute_b32 v7, v6, v7
	s_waitcnt lgkmcnt(0)
	v_fmac_f32_e32 v7, v16, v1
	ds_bpermute_b32 v12, v2, v7
	v_cvt_f16_f32_e32 v1, v1
	s_waitcnt lgkmcnt(0)
	v_add_f32_e32 v7, v7, v12
	ds_bpermute_b32 v12, v3, v7
	s_waitcnt vmcnt(0)
	v_pk_mul_f16 v8, v1, v8 op_sel_hi:[0,1]
	v_pk_mul_f16 v9, v1, v9 op_sel_hi:[0,1]
	v_pk_mul_f16 v10, v1, v10 op_sel_hi:[0,1]
	v_pk_mul_f16 v11, v1, v11 op_sel_hi:[0,1]
	s_waitcnt lgkmcnt(0)
	v_add_f32_e32 v12, v7, v12
	ds_bpermute_b32 v14, v4, v12
	v_and_b32_e32 v7, 0x780, v13
	v_lshl_add_u32 v7, v73, 9, v7
	v_and_or_b32 v7, v13, s4, v7
	scratch_store_dwordx4 off, v[8:11], off
	s_waitcnt lgkmcnt(0)
	v_add_f32_e32 v12, v12, v14
	ds_bpermute_b32 v13, v5, v12
	ds_write_b128 v7, v[8:11]
	s_waitcnt lgkmcnt(1)
	v_add_f32_e32 v16, v12, v13
	s_and_saveexec_b64 s[4:5], s[6:7]
	s_cbranch_execz .LBB9_56
; %bb.55:
	v_lshlrev_b32_e32 v1, 2, v73
	ds_write_b32 v1, v16 offset:2304
.LBB9_56:
	s_or_b64 exec, exec, s[4:5]
	s_add_u32 s8, s0, 0xd0
	v_cmp_gt_u32_e64 s[4:5], 64, v74
	s_addc_u32 s9, s1, 0
	s_add_i32 s10, s2, s33
	s_waitcnt lgkmcnt(0)
	s_barrier
	s_and_saveexec_b64 s[0:1], s[4:5]
	s_cbranch_execz .LBB9_58
; %bb.57:
	ds_read_b32 v9, v76 offset:2304
	ds_read_u16 v1, v75
	ds_read_u16 v8, v75 offset:128
	ds_read_u16 v10, v75 offset:256
	;; [unrolled: 1-line block ×6, first 2 shown]
	s_waitcnt lgkmcnt(6)
	v_cvt_f32_f16_e32 v1, v1
	s_waitcnt lgkmcnt(5)
	v_cvt_f32_f16_e32 v8, v8
	s_waitcnt lgkmcnt(4)
	v_cvt_f32_f16_e32 v10, v10
	s_waitcnt lgkmcnt(3)
	v_cvt_f32_f16_e32 v12, v12
	v_add_f32_e32 v1, 0, v1
	v_add_f32_e32 v1, v1, v8
	s_waitcnt lgkmcnt(2)
	v_cvt_f32_f16_e32 v8, v13
	v_add_f32_e32 v1, v1, v10
	s_waitcnt lgkmcnt(1)
	v_cvt_f32_f16_e32 v10, v14
	;; [unrolled: 3-line block ×3, first 2 shown]
	ds_read_u16 v13, v75 offset:896
	ds_read_u16 v14, v75 offset:1024
	;; [unrolled: 1-line block ×8, first 2 shown]
	s_waitcnt lgkmcnt(7)
	v_cvt_f32_f16_e32 v13, v13
	v_add_f32_e32 v1, v1, v8
	v_add_f32_e32 v1, v1, v10
	s_waitcnt lgkmcnt(6)
	v_cvt_f32_f16_e32 v8, v14
	v_add_f32_e32 v1, v1, v12
	s_waitcnt lgkmcnt(5)
	v_cvt_f32_f16_e32 v12, v15
	ds_bpermute_b32 v11, v6, v9
	v_add_f32_e32 v1, v1, v13
	s_waitcnt lgkmcnt(5)
	v_cvt_f32_f16_e32 v13, v16
	s_waitcnt lgkmcnt(4)
	v_cvt_f32_f16_e32 v10, v18
	v_add_f32_e32 v1, v1, v8
	v_add_f32_e32 v1, v1, v12
	;; [unrolled: 1-line block ×3, first 2 shown]
	s_waitcnt lgkmcnt(0)
	v_pk_add_f32 v[8:9], v[8:9], v[10:11]
	ds_bpermute_b32 v11, v2, v9
	v_cvt_f32_f16_e32 v10, v20
	ds_read_u16 v1, v75 offset:1920
	s_load_dword s11, s[8:9], 0x4
	s_waitcnt lgkmcnt(0)
	v_pk_add_f32 v[8:9], v[8:9], v[10:11]
	ds_bpermute_b32 v11, v3, v9
	v_cvt_f32_f16_e32 v10, v21
	s_cmp_eq_u32 s11, 1
	s_waitcnt lgkmcnt(0)
	v_pk_add_f32 v[8:9], v[8:9], v[10:11]
	ds_bpermute_b32 v11, v4, v9
	v_cvt_f32_f16_e32 v10, v22
	s_waitcnt lgkmcnt(0)
	v_pk_add_f32 v[8:9], v[8:9], v[10:11]
	ds_bpermute_b32 v11, v5, v9
	v_cvt_f32_f16_e32 v10, v1
	s_waitcnt lgkmcnt(0)
	v_pk_add_f32 v[8:9], v[8:9], v[10:11]
	s_nop 0
	v_div_scale_f32 v1, s[12:13], v9, v9, v8
	v_rcp_f32_e32 v10, v1
	s_mul_i32 s12, s10, s19
	v_mov_b32_e32 v16, v9
	v_fma_f32 v11, -v1, v10, 1.0
	v_fmac_f32_e32 v10, v11, v10
	v_div_scale_f32 v11, vcc, v8, v9, v8
	v_mul_f32_e32 v12, v11, v10
	v_fma_f32 v13, -v1, v12, v11
	v_fmac_f32_e32 v12, v13, v10
	v_fma_f32 v1, -v1, v12, v11
	v_div_fmas_f32 v1, v1, v10, v12
	s_cselect_b64 vcc, -1, 0
	s_add_i32 s12, s12, s20
	s_mul_i32 s11, s11, s12
	v_div_fixup_f32 v1, v1, v9, v8
	s_add_i32 s11, s11, s3
	v_cndmask_b32_e32 v1, v8, v1, vcc
	v_lshl_or_b32 v8, s11, 6, v74
	v_mov_b32_e32 v9, 0
	v_lshl_add_u64 v[8:9], v[8:9], 2, s[48:49]
	global_store_dword v[8:9], v1, off
.LBB9_58:
	s_or_b64 exec, exec, s[0:1]
	s_or_b32 s0, s33, 1
	s_cmp_ge_i32 s0, s18
	s_barrier
	s_cbranch_scc1 .LBB9_64
; %bb.59:
	v_add_u32_e32 v1, 0x800, v76
	ds_read_b32 v1, v1 offset:128
	scratch_load_dwordx4 v[8:11], off, off offset:16
	s_mov_b32 s0, 0x3fb8aa3b
	s_mov_b32 s1, 0x42b17218
	s_waitcnt lgkmcnt(0)
	ds_bpermute_b32 v12, v6, v1
	v_max_f32_e32 v1, v1, v1
	s_waitcnt lgkmcnt(0)
	v_max_f32_e32 v12, v12, v12
	v_max_f32_e32 v1, v1, v12
	ds_bpermute_b32 v12, v2, v1
	s_waitcnt lgkmcnt(0)
	v_max_f32_e32 v12, v12, v12
	v_max_f32_e32 v1, v1, v12
	ds_bpermute_b32 v12, v3, v1
	;; [unrolled: 4-line block ×4, first 2 shown]
	s_waitcnt lgkmcnt(0)
	v_max_f32_e32 v12, v12, v12
	v_max_f32_e32 v1, v1, v12
	v_sub_f32_e32 v12, v19, v1
	v_mul_f32_e32 v13, 0x3fb8aa3b, v12
	v_fma_f32 v14, v12, s0, -v13
	v_rndne_f32_e32 v15, v13
	v_fmamk_f32 v14, v12, 0x32a5705f, v14
	v_sub_f32_e32 v13, v13, v15
	v_add_f32_e32 v13, v13, v14
	v_cvt_i32_f32_e32 v15, v15
	v_exp_f32_e32 v13, v13
	s_mov_b32 s0, 0xc2ce8ed0
	v_cmp_ngt_f32_e32 vcc, s0, v12
	v_mov_b32_e32 v14, 0x7f800000
	v_ldexp_f32 v13, v13, v15
	v_cndmask_b32_e32 v13, 0, v13, vcc
	v_cmp_nlt_f32_e32 vcc, s1, v12
	s_nop 1
	v_cndmask_b32_e32 v12, v14, v13, vcc
	v_mul_f32_e32 v13, v17, v12
	ds_bpermute_b32 v13, v6, v13
	s_waitcnt lgkmcnt(0)
	v_fmac_f32_e32 v13, v17, v12
	ds_bpermute_b32 v14, v2, v13
	v_cvt_f16_f32_e32 v12, v12
	s_waitcnt lgkmcnt(0)
	v_add_f32_e32 v13, v13, v14
	ds_bpermute_b32 v14, v3, v13
	s_waitcnt lgkmcnt(0)
	v_add_f32_e32 v13, v13, v14
	ds_bpermute_b32 v14, v4, v13
	s_waitcnt vmcnt(0)
	v_pk_mul_f16 v8, v12, v8 op_sel_hi:[0,1]
	s_waitcnt lgkmcnt(0)
	v_add_f32_e32 v13, v13, v14
	ds_bpermute_b32 v14, v5, v13
	v_pk_mul_f16 v9, v12, v9 op_sel_hi:[0,1]
	v_pk_mul_f16 v10, v12, v10 op_sel_hi:[0,1]
	;; [unrolled: 1-line block ×3, first 2 shown]
	scratch_store_dwordx4 off, v[8:11], off offset:16
	s_waitcnt lgkmcnt(0)
	v_add_f32_e32 v17, v13, v14
	ds_write_b128 v7, v[8:11]
	s_and_saveexec_b64 s[0:1], s[6:7]
	s_cbranch_execz .LBB9_61
; %bb.60:
	v_lshlrev_b32_e32 v7, 2, v73
	ds_write_b32 v7, v17 offset:2432
.LBB9_61:
	s_or_b64 exec, exec, s[0:1]
	s_waitcnt lgkmcnt(0)
	s_barrier
	s_and_saveexec_b64 s[0:1], s[4:5]
	s_cbranch_execz .LBB9_63
; %bb.62:
	ds_read_b32 v7, v76 offset:2432
	ds_read_u16 v8, v75
	ds_read_u16 v10, v75 offset:128
	ds_read_u16 v11, v75 offset:256
	;; [unrolled: 1-line block ×6, first 2 shown]
	s_waitcnt lgkmcnt(7)
	ds_bpermute_b32 v9, v6, v7
	s_waitcnt lgkmcnt(7)
	v_cvt_f32_f16_e32 v6, v8
	s_waitcnt lgkmcnt(6)
	v_cvt_f32_f16_e32 v8, v10
	;; [unrolled: 2-line block ×4, first 2 shown]
	v_add_f32_e32 v6, 0, v6
	v_add_f32_e32 v6, v6, v8
	s_waitcnt lgkmcnt(3)
	v_cvt_f32_f16_e32 v8, v13
	v_add_f32_e32 v6, v6, v10
	s_waitcnt lgkmcnt(2)
	v_cvt_f32_f16_e32 v10, v14
	;; [unrolled: 3-line block ×3, first 2 shown]
	ds_read_u16 v12, v75 offset:896
	ds_read_u16 v13, v75 offset:1024
	;; [unrolled: 1-line block ×8, first 2 shown]
	s_waitcnt lgkmcnt(7)
	v_cvt_f32_f16_e32 v12, v12
	v_add_f32_e32 v6, v6, v8
	v_add_f32_e32 v6, v6, v10
	s_waitcnt lgkmcnt(6)
	v_cvt_f32_f16_e32 v10, v13
	v_add_f32_e32 v6, v6, v11
	s_waitcnt lgkmcnt(5)
	v_cvt_f32_f16_e32 v11, v14
	;; [unrolled: 3-line block ×3, first 2 shown]
	s_waitcnt lgkmcnt(3)
	v_cvt_f32_f16_e32 v8, v17
	v_add_f32_e32 v6, v6, v10
	v_add_f32_e32 v6, v6, v11
	;; [unrolled: 1-line block ×3, first 2 shown]
	v_pk_add_f32 v[6:7], v[6:7], v[8:9]
	ds_bpermute_b32 v9, v2, v7
	s_waitcnt lgkmcnt(3)
	v_cvt_f32_f16_e32 v8, v18
	s_waitcnt lgkmcnt(2)
	v_cvt_f32_f16_e32 v2, v19
	s_add_i32 s4, s10, 1
	s_mul_i32 s6, s4, s19
	s_waitcnt lgkmcnt(0)
	v_pk_add_f32 v[6:7], v[6:7], v[8:9]
	ds_bpermute_b32 v3, v3, v7
	s_load_dword s7, s[8:9], 0x4
	s_add_i32 s6, s6, s20
	s_waitcnt lgkmcnt(0)
	v_pk_add_f32 v[2:3], v[6:7], v[2:3]
	ds_bpermute_b32 v7, v4, v3
	v_cvt_f32_f16_e32 v6, v20
	ds_read_u16 v4, v75 offset:1920
	s_cmp_eq_u32 s7, 1
	s_waitcnt lgkmcnt(1)
	v_pk_add_f32 v[2:3], v[2:3], v[6:7]
	ds_bpermute_b32 v5, v5, v3
	s_waitcnt lgkmcnt(1)
	v_cvt_f32_f16_e32 v4, v4
	s_waitcnt lgkmcnt(0)
	v_pk_add_f32 v[2:3], v[2:3], v[4:5]
	s_nop 0
	v_div_scale_f32 v4, s[4:5], v3, v3, v2
	v_rcp_f32_e32 v5, v4
	s_mul_i32 s4, s7, s6
	v_mov_b32_e32 v17, v3
	v_fma_f32 v6, -v4, v5, 1.0
	v_fmac_f32_e32 v5, v6, v5
	v_div_scale_f32 v6, vcc, v2, v3, v2
	v_mul_f32_e32 v7, v6, v5
	v_fma_f32 v8, -v4, v7, v6
	v_fmac_f32_e32 v7, v8, v5
	v_fma_f32 v4, -v4, v7, v6
	v_div_fmas_f32 v4, v4, v5, v7
	v_div_fixup_f32 v3, v4, v3, v2
	s_cselect_b64 vcc, -1, 0
	s_add_i32 s4, s4, s3
	v_cndmask_b32_e32 v4, v2, v3, vcc
	v_lshl_or_b32 v2, s4, 6, v74
	v_mov_b32_e32 v3, 0
	v_lshl_add_u64 v[2:3], v[2:3], 2, s[48:49]
	global_store_dword v[2:3], v4, off
.LBB9_63:
	s_or_b64 exec, exec, s[0:1]
	s_branch .LBB9_65
.LBB9_64:
	v_mov_b32_e32 v1, v19
.LBB9_65:
	v_mov_b64_e32 v[18:19], v[0:1]
.LBB9_66:
	s_load_dword s0, s[8:9], 0x4
	v_cmp_gt_u32_e32 vcc, 2, v74
	v_or_b32_e32 v0, s33, v72
	s_waitcnt lgkmcnt(0)
	s_cmp_lg_u32 s0, 1
	s_cselect_b64 s[4:5], -1, 0
	s_and_b64 s[4:5], vcc, s[4:5]
	v_cmp_gt_i32_e32 vcc, s18, v0
	s_and_b64 s[4:5], s[4:5], vcc
	s_and_saveexec_b64 s[6:7], s[4:5]
	s_cbranch_execz .LBB9_68
; %bb.67:
	v_add_u32_e32 v0, s2, v0
	v_mul_lo_u32 v0, v0, s19
	v_add_u32_e32 v0, s20, v0
	v_mul_lo_u32 v0, s0, v0
	v_mov_b32_e32 v2, s50
	v_mov_b32_e32 v3, s51
	v_cmp_eq_u32_e32 vcc, 1, v74
	v_add_u32_e32 v0, s3, v0
	v_mov_b32_e32 v1, 0
	v_cndmask_b32_e32 v4, v18, v19, vcc
	v_cndmask_b32_e32 v5, v16, v17, vcc
	v_lshl_add_u64 v[0:1], v[0:1], 3, v[2:3]
	global_store_dwordx2 v[0:1], v[4:5], off
.LBB9_68:
	s_endpgm
	.section	.rodata,"a",@progbits
	.p2align	6, 0x0
	.amdhsa_kernel _ZL18flash_attn_ext_vecILi64ELi2EL9ggml_type2ELS0_30ELb0EEvPKcS2_S2_S2_S2_PKiPfP15HIP_vector_typeIfLj2EEffffjfiS6_IjLj3EEiiiiiiiiiiiliiliiiiil
		.amdhsa_group_segment_fixed_size 2560
		.amdhsa_private_segment_fixed_size 48
		.amdhsa_kernarg_size 464
		.amdhsa_user_sgpr_count 2
		.amdhsa_user_sgpr_dispatch_ptr 0
		.amdhsa_user_sgpr_queue_ptr 0
		.amdhsa_user_sgpr_kernarg_segment_ptr 1
		.amdhsa_user_sgpr_dispatch_id 0
		.amdhsa_user_sgpr_kernarg_preload_length 0
		.amdhsa_user_sgpr_kernarg_preload_offset 0
		.amdhsa_user_sgpr_private_segment_size 0
		.amdhsa_uses_dynamic_stack 0
		.amdhsa_enable_private_segment 1
		.amdhsa_system_sgpr_workgroup_id_x 1
		.amdhsa_system_sgpr_workgroup_id_y 1
		.amdhsa_system_sgpr_workgroup_id_z 1
		.amdhsa_system_sgpr_workgroup_info 0
		.amdhsa_system_vgpr_workitem_id 1
		.amdhsa_next_free_vgpr 117
		.amdhsa_next_free_sgpr 72
		.amdhsa_accum_offset 120
		.amdhsa_reserve_vcc 1
		.amdhsa_float_round_mode_32 0
		.amdhsa_float_round_mode_16_64 0
		.amdhsa_float_denorm_mode_32 3
		.amdhsa_float_denorm_mode_16_64 3
		.amdhsa_dx10_clamp 1
		.amdhsa_ieee_mode 1
		.amdhsa_fp16_overflow 0
		.amdhsa_tg_split 0
		.amdhsa_exception_fp_ieee_invalid_op 0
		.amdhsa_exception_fp_denorm_src 0
		.amdhsa_exception_fp_ieee_div_zero 0
		.amdhsa_exception_fp_ieee_overflow 0
		.amdhsa_exception_fp_ieee_underflow 0
		.amdhsa_exception_fp_ieee_inexact 0
		.amdhsa_exception_int_div_zero 0
	.end_amdhsa_kernel
	.section	.text._ZL18flash_attn_ext_vecILi64ELi2EL9ggml_type2ELS0_30ELb0EEvPKcS2_S2_S2_S2_PKiPfP15HIP_vector_typeIfLj2EEffffjfiS6_IjLj3EEiiiiiiiiiiiliiliiiiil,"axG",@progbits,_ZL18flash_attn_ext_vecILi64ELi2EL9ggml_type2ELS0_30ELb0EEvPKcS2_S2_S2_S2_PKiPfP15HIP_vector_typeIfLj2EEffffjfiS6_IjLj3EEiiiiiiiiiiiliiliiiiil,comdat
.Lfunc_end9:
	.size	_ZL18flash_attn_ext_vecILi64ELi2EL9ggml_type2ELS0_30ELb0EEvPKcS2_S2_S2_S2_PKiPfP15HIP_vector_typeIfLj2EEffffjfiS6_IjLj3EEiiiiiiiiiiiliiliiiiil, .Lfunc_end9-_ZL18flash_attn_ext_vecILi64ELi2EL9ggml_type2ELS0_30ELb0EEvPKcS2_S2_S2_S2_PKiPfP15HIP_vector_typeIfLj2EEffffjfiS6_IjLj3EEiiiiiiiiiiiliiliiiiil
                                        ; -- End function
	.section	.AMDGPU.csdata,"",@progbits
; Kernel info:
; codeLenInByte = 11400
; NumSgprs: 78
; NumVgprs: 117
; NumAgprs: 0
; TotalNumVgprs: 117
; ScratchSize: 48
; MemoryBound: 0
; FloatMode: 240
; IeeeMode: 1
; LDSByteSize: 2560 bytes/workgroup (compile time only)
; SGPRBlocks: 9
; VGPRBlocks: 14
; NumSGPRsForWavesPerEU: 78
; NumVGPRsForWavesPerEU: 117
; AccumOffset: 120
; Occupancy: 4
; WaveLimiterHint : 0
; COMPUTE_PGM_RSRC2:SCRATCH_EN: 1
; COMPUTE_PGM_RSRC2:USER_SGPR: 2
; COMPUTE_PGM_RSRC2:TRAP_HANDLER: 0
; COMPUTE_PGM_RSRC2:TGID_X_EN: 1
; COMPUTE_PGM_RSRC2:TGID_Y_EN: 1
; COMPUTE_PGM_RSRC2:TGID_Z_EN: 1
; COMPUTE_PGM_RSRC2:TIDIG_COMP_CNT: 1
; COMPUTE_PGM_RSRC3_GFX90A:ACCUM_OFFSET: 29
; COMPUTE_PGM_RSRC3_GFX90A:TG_SPLIT: 0
	.section	.text._ZL25flash_attn_mask_to_KV_maxILi2EEvPK7__half2Piiii,"axG",@progbits,_ZL25flash_attn_mask_to_KV_maxILi2EEvPK7__half2Piiii,comdat
	.globl	_ZL25flash_attn_mask_to_KV_maxILi2EEvPK7__half2Piiii ; -- Begin function _ZL25flash_attn_mask_to_KV_maxILi2EEvPK7__half2Piiii
	.p2align	8
	.type	_ZL25flash_attn_mask_to_KV_maxILi2EEvPK7__half2Piiii,@function
_ZL25flash_attn_mask_to_KV_maxILi2EEvPK7__half2Piiii: ; @_ZL25flash_attn_mask_to_KV_maxILi2EEvPK7__half2Piiii
; %bb.0:
	s_load_dwordx4 s[4:7], s[0:1], 0x0
	v_cmp_gt_u32_e32 vcc, 32, v0
	s_and_saveexec_b64 s[8:9], vcc
	s_cbranch_execz .LBB10_2
; %bb.1:
	v_lshlrev_b32_e32 v1, 2, v0
	v_mov_b32_e32 v2, 1
	ds_write_b32 v1, v2
.LBB10_2:
	s_or_b64 exec, exec, s[8:9]
	s_load_dwordx4 s[8:11], s[0:1], 0x10
	s_load_dword s18, s[0:1], 0x20
	v_and_b32_e32 v2, 31, v0
	v_lshlrev_b32_e32 v4, 2, v2
	v_lshrrev_b32_e32 v1, 3, v0
	s_waitcnt lgkmcnt(0)
	s_mul_i32 s1, s2, s9
	s_mul_i32 s0, s3, s10
	s_lshl_b32 s1, s1, 1
	s_add_i32 s0, s0, s1
	s_ashr_i32 s1, s0, 31
	s_lshl_b64 s[0:1], s[0:1], 2
	s_add_u32 s10, s4, s0
	s_addc_u32 s11, s5, s1
	v_cmp_eq_u32_e64 s[0:1], 0, v2
	v_mbcnt_lo_u32_b32 v2, -1, 0
	v_mbcnt_hi_u32_b32 v5, -1, v2
	v_and_b32_e32 v2, 0x60, v5
	s_lshl_b32 s8, s8, 8
	s_mov_b64 s[12:13], 0
	v_mov_b32_e32 v3, 0
	s_movk_i32 s19, 0x204
	s_movk_i32 s20, 0x7fff
	;; [unrolled: 1-line block ×3, first 2 shown]
	v_add_u32_e32 v6, 32, v2
	v_xor_b32_e32 v7, 16, v5
	v_xor_b32_e32 v8, 8, v5
	;; [unrolled: 1-line block ×5, first 2 shown]
	s_barrier
	s_waitcnt lgkmcnt(0)
                                        ; implicit-def: $sgpr4_sgpr5
	s_branch .LBB10_5
.LBB10_3:                               ;   in Loop: Header=BB10_5 Depth=1
	s_or_b64 exec, exec, s[14:15]
	s_waitcnt lgkmcnt(0)
	s_barrier
	ds_read_b32 v16, v4
	s_waitcnt lgkmcnt(0)
	s_barrier
	ds_bpermute_b32 v2, v2, v16
	v_cmp_ne_u32_e32 vcc, 0, v16
	s_waitcnt lgkmcnt(0)
	v_cmp_ne_u32_e64 s[4:5], 0, v2
	s_and_b64 s[4:5], vcc, s[4:5]
	s_nop 0
	v_cndmask_b32_e64 v2, 0, 1, s[4:5]
	ds_bpermute_b32 v2, v12, v2
	s_waitcnt lgkmcnt(0)
	v_cmp_ne_u32_e32 vcc, 0, v2
	s_and_b64 s[4:5], vcc, s[4:5]
	v_cndmask_b32_e64 v2, 0, 1, s[4:5]
	ds_bpermute_b32 v2, v13, v2
	s_waitcnt lgkmcnt(0)
	v_cmp_ne_u32_e32 vcc, 0, v2
	s_and_b64 s[4:5], vcc, s[4:5]
	v_cndmask_b32_e64 v2, 0, 1, s[4:5]
	ds_bpermute_b32 v2, v14, v2
	s_waitcnt lgkmcnt(0)
	v_cmp_ne_u32_e32 vcc, 0, v2
	s_and_b64 s[4:5], vcc, s[4:5]
	v_cndmask_b32_e64 v2, 0, 1, s[4:5]
	ds_bpermute_b32 v2, v15, v2
	s_xor_b64 s[4:5], s[4:5], -1
	s_waitcnt lgkmcnt(0)
	v_cmp_eq_u32_e32 vcc, 0, v2
	s_or_b64 s[4:5], vcc, s[4:5]
.LBB10_4:                               ;   in Loop: Header=BB10_5 Depth=1
	s_and_b64 s[14:15], exec, s[4:5]
	s_or_b64 s[12:13], s[14:15], s[12:13]
	v_mov_b32_e32 v2, s8
	s_mov_b32 s8, s22
	s_andn2_b64 exec, exec, s[12:13]
	s_cbranch_execz .LBB10_12
.LBB10_5:                               ; =>This Inner Loop Header: Depth=1
	s_add_i32 s22, s8, 0xffffff00
	s_or_b64 s[4:5], s[4:5], exec
	s_cmp_lt_i32 s22, 0
	s_cbranch_scc1 .LBB10_4
; %bb.6:                                ;   in Loop: Header=BB10_5 Depth=1
	s_lshr_b32 s4, s22, 1
	v_add_u32_e32 v2, s4, v0
	v_lshl_add_u64 v[12:13], v[2:3], 2, s[10:11]
	global_load_dword v12, v[12:13], off
	s_mov_b64 s[14:15], 0
	s_waitcnt vmcnt(0)
	v_cmp_class_f16_e64 s[4:5], v12, s19
	v_and_b32_sdwa v12, s20, v12 dst_sel:DWORD dst_unused:UNUSED_PAD src0_sel:DWORD src1_sel:WORD_1
	v_cmp_eq_f16_e32 vcc, s21, v12
	s_and_b64 s[16:17], s[4:5], vcc
	s_and_saveexec_b64 s[4:5], s[16:17]
	s_cbranch_execz .LBB10_10
; %bb.7:                                ;   in Loop: Header=BB10_5 Depth=1
	v_add_u32_e32 v12, s9, v2
	v_ashrrev_i32_e32 v13, 31, v12
	v_lshl_add_u64 v[12:13], v[12:13], 2, s[10:11]
	global_load_dword v2, v[12:13], off
	s_waitcnt vmcnt(0)
	v_cmp_class_f16_e64 s[24:25], v2, s19
	s_and_saveexec_b64 s[16:17], s[24:25]
; %bb.8:                                ;   in Loop: Header=BB10_5 Depth=1
	v_cmp_class_f16_sdwa s[14:15], v2, s19 src0_sel:WORD_1 src1_sel:DWORD
	s_and_b64 s[14:15], s[14:15], exec
; %bb.9:                                ;   in Loop: Header=BB10_5 Depth=1
	s_or_b64 exec, exec, s[16:17]
	s_and_b64 s[14:15], s[14:15], exec
.LBB10_10:                              ;   in Loop: Header=BB10_5 Depth=1
	s_or_b64 exec, exec, s[4:5]
	v_cmp_lt_i32_e32 vcc, v7, v6
	v_cndmask_b32_e64 v12, 0, 1, s[14:15]
	s_nop 0
	v_cndmask_b32_e32 v2, v5, v7, vcc
	v_lshlrev_b32_e32 v2, 2, v2
	ds_bpermute_b32 v12, v2, v12
	s_waitcnt lgkmcnt(0)
	v_cmp_ne_u32_e32 vcc, 0, v12
	s_and_b64 s[4:5], s[14:15], vcc
	v_cmp_lt_i32_e32 vcc, v8, v6
	v_cndmask_b32_e64 v13, 0, 1, s[4:5]
	s_nop 0
	v_cndmask_b32_e32 v12, v5, v8, vcc
	v_lshlrev_b32_e32 v12, 2, v12
	ds_bpermute_b32 v13, v12, v13
	s_waitcnt lgkmcnt(0)
	v_cmp_ne_u32_e32 vcc, 0, v13
	s_and_b64 s[4:5], vcc, s[4:5]
	v_cmp_lt_i32_e32 vcc, v9, v6
	v_cndmask_b32_e64 v14, 0, 1, s[4:5]
	s_nop 0
	v_cndmask_b32_e32 v13, v5, v9, vcc
	v_lshlrev_b32_e32 v13, 2, v13
	ds_bpermute_b32 v14, v13, v14
	s_waitcnt lgkmcnt(0)
	v_cmp_ne_u32_e32 vcc, 0, v14
	s_and_b64 s[4:5], vcc, s[4:5]
	;; [unrolled: 9-line block ×3, first 2 shown]
	v_cmp_lt_i32_e32 vcc, v11, v6
	v_cndmask_b32_e64 v16, 0, 1, s[4:5]
	s_nop 0
	v_cndmask_b32_e32 v15, v5, v11, vcc
	v_lshlrev_b32_e32 v15, 2, v15
	ds_bpermute_b32 v16, v15, v16
	s_and_saveexec_b64 s[14:15], s[0:1]
	s_cbranch_execz .LBB10_3
; %bb.11:                               ;   in Loop: Header=BB10_5 Depth=1
	s_waitcnt lgkmcnt(0)
	v_cmp_ne_u32_e32 vcc, 0, v16
	s_and_b64 s[4:5], vcc, s[4:5]
	v_cndmask_b32_e64 v16, 0, 1, s[4:5]
	ds_write_b32 v1, v16
	s_branch .LBB10_3
.LBB10_12:
	s_or_b64 exec, exec, s[12:13]
	v_cmp_eq_u32_e32 vcc, 0, v0
	s_and_saveexec_b64 s[0:1], vcc
	s_cbranch_execz .LBB10_14
; %bb.13:
	s_mul_i32 s0, s18, s3
	s_add_i32 s0, s0, s2
	s_ashr_i32 s1, s0, 31
	s_lshl_b64 s[0:1], s[0:1], 2
	s_add_u32 s0, s6, s0
	s_addc_u32 s1, s7, s1
	v_mov_b32_e32 v0, 0
	global_store_dword v0, v2, s[0:1]
.LBB10_14:
	s_endpgm
	.section	.rodata,"a",@progbits
	.p2align	6, 0x0
	.amdhsa_kernel _ZL25flash_attn_mask_to_KV_maxILi2EEvPK7__half2Piiii
		.amdhsa_group_segment_fixed_size 128
		.amdhsa_private_segment_fixed_size 0
		.amdhsa_kernarg_size 288
		.amdhsa_user_sgpr_count 2
		.amdhsa_user_sgpr_dispatch_ptr 0
		.amdhsa_user_sgpr_queue_ptr 0
		.amdhsa_user_sgpr_kernarg_segment_ptr 1
		.amdhsa_user_sgpr_dispatch_id 0
		.amdhsa_user_sgpr_kernarg_preload_length 0
		.amdhsa_user_sgpr_kernarg_preload_offset 0
		.amdhsa_user_sgpr_private_segment_size 0
		.amdhsa_uses_dynamic_stack 0
		.amdhsa_enable_private_segment 0
		.amdhsa_system_sgpr_workgroup_id_x 1
		.amdhsa_system_sgpr_workgroup_id_y 1
		.amdhsa_system_sgpr_workgroup_id_z 0
		.amdhsa_system_sgpr_workgroup_info 0
		.amdhsa_system_vgpr_workitem_id 0
		.amdhsa_next_free_vgpr 17
		.amdhsa_next_free_sgpr 26
		.amdhsa_accum_offset 20
		.amdhsa_reserve_vcc 1
		.amdhsa_float_round_mode_32 0
		.amdhsa_float_round_mode_16_64 0
		.amdhsa_float_denorm_mode_32 3
		.amdhsa_float_denorm_mode_16_64 3
		.amdhsa_dx10_clamp 1
		.amdhsa_ieee_mode 1
		.amdhsa_fp16_overflow 0
		.amdhsa_tg_split 0
		.amdhsa_exception_fp_ieee_invalid_op 0
		.amdhsa_exception_fp_denorm_src 0
		.amdhsa_exception_fp_ieee_div_zero 0
		.amdhsa_exception_fp_ieee_overflow 0
		.amdhsa_exception_fp_ieee_underflow 0
		.amdhsa_exception_fp_ieee_inexact 0
		.amdhsa_exception_int_div_zero 0
	.end_amdhsa_kernel
	.section	.text._ZL25flash_attn_mask_to_KV_maxILi2EEvPK7__half2Piiii,"axG",@progbits,_ZL25flash_attn_mask_to_KV_maxILi2EEvPK7__half2Piiii,comdat
.Lfunc_end10:
	.size	_ZL25flash_attn_mask_to_KV_maxILi2EEvPK7__half2Piiii, .Lfunc_end10-_ZL25flash_attn_mask_to_KV_maxILi2EEvPK7__half2Piiii
                                        ; -- End function
	.section	.AMDGPU.csdata,"",@progbits
; Kernel info:
; codeLenInByte = 848
; NumSgprs: 32
; NumVgprs: 17
; NumAgprs: 0
; TotalNumVgprs: 17
; ScratchSize: 0
; MemoryBound: 0
; FloatMode: 240
; IeeeMode: 1
; LDSByteSize: 128 bytes/workgroup (compile time only)
; SGPRBlocks: 3
; VGPRBlocks: 2
; NumSGPRsForWavesPerEU: 32
; NumVGPRsForWavesPerEU: 17
; AccumOffset: 20
; Occupancy: 8
; WaveLimiterHint : 0
; COMPUTE_PGM_RSRC2:SCRATCH_EN: 0
; COMPUTE_PGM_RSRC2:USER_SGPR: 2
; COMPUTE_PGM_RSRC2:TRAP_HANDLER: 0
; COMPUTE_PGM_RSRC2:TGID_X_EN: 1
; COMPUTE_PGM_RSRC2:TGID_Y_EN: 1
; COMPUTE_PGM_RSRC2:TGID_Z_EN: 0
; COMPUTE_PGM_RSRC2:TIDIG_COMP_CNT: 0
; COMPUTE_PGM_RSRC3_GFX90A:ACCUM_OFFSET: 4
; COMPUTE_PGM_RSRC3_GFX90A:TG_SPLIT: 0
	.section	.text._ZL33flash_attn_stream_k_fixup_uniformILi64ELi2ELi1EEvPfPK15HIP_vector_typeIfLj2EEiiiiiiS1_IjLj3EES5_S5_,"axG",@progbits,_ZL33flash_attn_stream_k_fixup_uniformILi64ELi2ELi1EEvPfPK15HIP_vector_typeIfLj2EEiiiiiiS1_IjLj3EES5_S5_,comdat
	.globl	_ZL33flash_attn_stream_k_fixup_uniformILi64ELi2ELi1EEvPfPK15HIP_vector_typeIfLj2EEiiiiiiS1_IjLj3EES5_S5_ ; -- Begin function _ZL33flash_attn_stream_k_fixup_uniformILi64ELi2ELi1EEvPfPK15HIP_vector_typeIfLj2EEiiiiiiS1_IjLj3EES5_S5_
	.p2align	8
	.type	_ZL33flash_attn_stream_k_fixup_uniformILi64ELi2ELi1EEvPfPK15HIP_vector_typeIfLj2EEiiiiiiS1_IjLj3EES5_S5_,@function
_ZL33flash_attn_stream_k_fixup_uniformILi64ELi2ELi1EEvPfPK15HIP_vector_typeIfLj2EEiiiiiiS1_IjLj3EES5_S5_: ; @_ZL33flash_attn_stream_k_fixup_uniformILi64ELi2ELi1EEvPfPK15HIP_vector_typeIfLj2EEiiiiiiS1_IjLj3EES5_S5_
; %bb.0:
	s_load_dwordx8 s[8:15], s[0:1], 0x1c
	s_load_dwordx2 s[6:7], s[0:1], 0x10
	s_load_dwordx4 s[20:23], s[0:1], 0x3c
	s_waitcnt lgkmcnt(0)
	s_mul_hi_u32 s5, s11, s2
	s_add_i32 s5, s2, s5
	s_lshr_b32 s5, s5, s12
	s_mul_i32 s11, s5, s13
	s_sub_i32 s11, s2, s11
	s_mul_hi_u32 s12, s11, s14
	s_add_i32 s12, s11, s12
	s_lshr_b32 s16, s12, s15
	s_mul_i32 s12, s16, s20
	s_sub_i32 s12, s11, s12
	;; [unrolled: 5-line block ×3, first 2 shown]
	s_lshl_b32 s12, s17, 1
	s_add_i32 s12, s12, s3
	s_cmp_lt_i32 s12, s6
	s_cselect_b64 s[12:13], -1, 0
	s_add_i32 s14, s11, s4
	s_cmp_lt_i32 s14, s9
	s_cselect_b64 s[14:15], -1, 0
	s_and_b64 s[12:13], s[12:13], s[14:15]
	s_andn2_b64 vcc, exec, s[12:13]
	s_cbranch_vccnz .LBB11_6
; %bb.1:
	s_load_dwordx4 s[12:15], s[0:1], 0x0
	s_mul_i32 s0, s5, s6
	s_add_i32 s0, s0, s3
	s_mul_i32 s0, s0, s7
	s_mul_i32 s16, s16, s9
	s_add_i32 s0, s0, s4
	s_add_i32 s0, s0, s16
	s_mul_i32 s1, s7, s17
	s_add_i32 s0, s0, s11
	s_lshl_b32 s1, s1, 7
	s_lshl_b32 s0, s0, 6
	s_add_i32 s1, s1, s0
	v_or_b32_e32 v4, s1, v0
	s_waitcnt lgkmcnt(0)
	v_mov_b32_e32 v2, s12
	v_mov_b32_e32 v3, s13
	v_ashrrev_i32_e32 v5, 31, v4
	v_lshl_add_u64 v[2:3], v[4:5], 2, v[2:3]
	global_load_dword v7, v[2:3], off
	s_mul_i32 s6, s2, s10
	s_add_i32 s7, s6, s10
	s_add_i32 s3, s3, s4
	s_lshl_b32 s0, s7, 1
	s_add_i32 s0, s3, s0
	s_add_i32 s0, s0, -2
	s_ashr_i32 s1, s0, 31
	s_lshl_b64 s[0:1], s[0:1], 3
	s_add_u32 s0, s14, s0
	s_addc_u32 s1, s15, s1
	s_load_dword s9, s[0:1], 0x4
	s_add_i32 s4, s7, -2
	s_cmp_lt_i32 s4, s6
	s_cbranch_scc1 .LBB11_4
; %bb.2:
	s_lshl_b32 s4, s8, 3
	s_ashr_i32 s5, s4, 31
	s_lshl_b64 s[4:5], s[4:5], 2
	s_add_u32 s4, s14, s4
	s_addc_u32 s5, s15, s5
	s_add_i32 s2, s2, 1
	s_mul_i32 s2, s10, s2
	s_load_dword s0, s[0:1], 0x0
	s_lshl_b32 s1, s3, 6
	s_lshl_b32 s10, s2, 7
	s_add_i32 s1, s1, s10
	v_or_b32_e32 v0, s1, v0
	s_lshl_b32 s1, s2, 1
	s_add_i32 s1, s3, s1
	s_lshl_b32 s2, s8, 1
	s_add_i32 s1, s1, s2
	s_add_i32 s7, s7, -1
	v_add_u32_e32 v0, 0xffffff00, v0
	s_add_i32 s2, s1, -4
	s_waitcnt lgkmcnt(0)
	v_mov_b32_e32 v6, s9
	v_mov_b32_e32 v5, s0
	s_mov_b32 s8, 0x3fb8aa3b
	s_mov_b32 s9, 0xc2ce8ed0
	;; [unrolled: 1-line block ×3, first 2 shown]
	v_mov_b32_e32 v4, 0x7f800000
	s_mov_b32 s11, 0xc1a00000
.LBB11_3:                               ; =>This Inner Loop Header: Depth=1
	v_ashrrev_i32_e32 v1, 31, v0
	v_lshl_add_u64 v[8:9], v[0:1], 2, s[4:5]
	global_load_dword v1, v[8:9], off
	s_ashr_i32 s3, s2, 31
	s_lshl_b64 s[0:1], s[2:3], 3
	s_add_u32 s0, s14, s0
	s_addc_u32 s1, s15, s1
	s_load_dwordx2 s[12:13], s[0:1], 0x0
	s_waitcnt vmcnt(1)
	v_mov_b32_e32 v8, v7
	v_max_f32_e32 v7, v5, v5
	v_mov_b32_e32 v9, v6
	s_add_i32 s7, s7, -1
	s_waitcnt lgkmcnt(0)
	v_max_f32_e64 v6, s12, s12
	v_max_f32_e32 v6, v7, v6
	v_sub_f32_e32 v10, s12, v6
	v_sub_f32_e32 v7, v5, v6
	v_mul_f32_e32 v11, 0x3fb8aa3b, v10
	v_mov_b32_e32 v5, v6
	v_mul_f32_e32 v6, 0x3fb8aa3b, v7
	v_fma_f32 v14, v10, s8, -v11
	v_rndne_f32_e32 v15, v11
	v_fma_f32 v12, v7, s8, -v6
	v_rndne_f32_e32 v13, v6
	v_fmac_f32_e32 v14, 0x32a5705f, v10
	v_sub_f32_e32 v11, v11, v15
	v_fmac_f32_e32 v12, 0x32a5705f, v7
	v_sub_f32_e32 v6, v6, v13
	v_add_f32_e32 v11, v11, v14
	v_cvt_i32_f32_e32 v15, v15
	v_add_f32_e32 v6, v6, v12
	v_exp_f32_e32 v11, v11
	v_cvt_i32_f32_e32 v13, v13
	v_exp_f32_e32 v6, v6
	v_cmp_ngt_f32_e32 vcc, s9, v10
	v_ldexp_f32 v11, v11, v15
	v_cmp_ngt_f32_e64 s[0:1], s9, v7
	v_ldexp_f32 v6, v6, v13
	v_cndmask_b32_e32 v11, 0, v11, vcc
	v_cmp_nlt_f32_e32 vcc, s10, v10
	v_cndmask_b32_e64 v6, 0, v6, s[0:1]
	v_cmp_nlt_f32_e64 s[0:1], s10, v7
	v_cndmask_b32_e32 v11, v4, v11, vcc
	v_cmp_le_f32_e32 vcc, s11, v10
	v_cndmask_b32_e64 v6, v4, v6, s[0:1]
	v_cmp_le_f32_e64 s[0:1], s11, v7
	v_cndmask_b32_e32 v7, 0, v11, vcc
	s_add_i32 s2, s2, -2
	v_cndmask_b32_e64 v10, 0, v6, s[0:1]
	v_mul_f32_e32 v6, s13, v7
	v_add_u32_e32 v0, 0xffffff80, v0
	s_cmp_le_i32 s7, s6
	v_fmac_f32_e32 v6, v9, v10
	s_waitcnt vmcnt(0)
	v_mul_f32_e32 v7, v1, v7
	v_fmac_f32_e32 v7, v8, v10
	s_cbranch_scc0 .LBB11_3
	s_branch .LBB11_5
.LBB11_4:
	s_waitcnt lgkmcnt(0)
	v_mov_b32_e32 v6, s9
.LBB11_5:
	s_waitcnt vmcnt(0)
	v_div_scale_f32 v0, s[0:1], v6, v6, v7
	v_rcp_f32_e32 v1, v0
	v_div_scale_f32 v4, vcc, v7, v6, v7
	v_fma_f32 v5, -v0, v1, 1.0
	v_fmac_f32_e32 v1, v5, v1
	v_mul_f32_e32 v5, v4, v1
	v_fma_f32 v8, -v0, v5, v4
	v_fmac_f32_e32 v5, v8, v1
	v_fma_f32 v0, -v0, v5, v4
	v_div_fmas_f32 v0, v0, v1, v5
	v_div_fixup_f32 v0, v0, v6, v7
	global_store_dword v[2:3], v0, off
.LBB11_6:
	s_endpgm
	.section	.rodata,"a",@progbits
	.p2align	6, 0x0
	.amdhsa_kernel _ZL33flash_attn_stream_k_fixup_uniformILi64ELi2ELi1EEvPfPK15HIP_vector_typeIfLj2EEiiiiiiS1_IjLj3EES5_S5_
		.amdhsa_group_segment_fixed_size 0
		.amdhsa_private_segment_fixed_size 0
		.amdhsa_kernarg_size 76
		.amdhsa_user_sgpr_count 2
		.amdhsa_user_sgpr_dispatch_ptr 0
		.amdhsa_user_sgpr_queue_ptr 0
		.amdhsa_user_sgpr_kernarg_segment_ptr 1
		.amdhsa_user_sgpr_dispatch_id 0
		.amdhsa_user_sgpr_kernarg_preload_length 0
		.amdhsa_user_sgpr_kernarg_preload_offset 0
		.amdhsa_user_sgpr_private_segment_size 0
		.amdhsa_uses_dynamic_stack 0
		.amdhsa_enable_private_segment 0
		.amdhsa_system_sgpr_workgroup_id_x 1
		.amdhsa_system_sgpr_workgroup_id_y 1
		.amdhsa_system_sgpr_workgroup_id_z 1
		.amdhsa_system_sgpr_workgroup_info 0
		.amdhsa_system_vgpr_workitem_id 0
		.amdhsa_next_free_vgpr 16
		.amdhsa_next_free_sgpr 24
		.amdhsa_accum_offset 16
		.amdhsa_reserve_vcc 1
		.amdhsa_float_round_mode_32 0
		.amdhsa_float_round_mode_16_64 0
		.amdhsa_float_denorm_mode_32 3
		.amdhsa_float_denorm_mode_16_64 3
		.amdhsa_dx10_clamp 1
		.amdhsa_ieee_mode 1
		.amdhsa_fp16_overflow 0
		.amdhsa_tg_split 0
		.amdhsa_exception_fp_ieee_invalid_op 0
		.amdhsa_exception_fp_denorm_src 0
		.amdhsa_exception_fp_ieee_div_zero 0
		.amdhsa_exception_fp_ieee_overflow 0
		.amdhsa_exception_fp_ieee_underflow 0
		.amdhsa_exception_fp_ieee_inexact 0
		.amdhsa_exception_int_div_zero 0
	.end_amdhsa_kernel
	.section	.text._ZL33flash_attn_stream_k_fixup_uniformILi64ELi2ELi1EEvPfPK15HIP_vector_typeIfLj2EEiiiiiiS1_IjLj3EES5_S5_,"axG",@progbits,_ZL33flash_attn_stream_k_fixup_uniformILi64ELi2ELi1EEvPfPK15HIP_vector_typeIfLj2EEiiiiiiS1_IjLj3EES5_S5_,comdat
.Lfunc_end11:
	.size	_ZL33flash_attn_stream_k_fixup_uniformILi64ELi2ELi1EEvPfPK15HIP_vector_typeIfLj2EEiiiiiiS1_IjLj3EES5_S5_, .Lfunc_end11-_ZL33flash_attn_stream_k_fixup_uniformILi64ELi2ELi1EEvPfPK15HIP_vector_typeIfLj2EEiiiiiiS1_IjLj3EES5_S5_
                                        ; -- End function
	.section	.AMDGPU.csdata,"",@progbits
; Kernel info:
; codeLenInByte = 820
; NumSgprs: 30
; NumVgprs: 16
; NumAgprs: 0
; TotalNumVgprs: 16
; ScratchSize: 0
; MemoryBound: 0
; FloatMode: 240
; IeeeMode: 1
; LDSByteSize: 0 bytes/workgroup (compile time only)
; SGPRBlocks: 3
; VGPRBlocks: 1
; NumSGPRsForWavesPerEU: 30
; NumVGPRsForWavesPerEU: 16
; AccumOffset: 16
; Occupancy: 8
; WaveLimiterHint : 0
; COMPUTE_PGM_RSRC2:SCRATCH_EN: 0
; COMPUTE_PGM_RSRC2:USER_SGPR: 2
; COMPUTE_PGM_RSRC2:TRAP_HANDLER: 0
; COMPUTE_PGM_RSRC2:TGID_X_EN: 1
; COMPUTE_PGM_RSRC2:TGID_Y_EN: 1
; COMPUTE_PGM_RSRC2:TGID_Z_EN: 1
; COMPUTE_PGM_RSRC2:TIDIG_COMP_CNT: 0
; COMPUTE_PGM_RSRC3_GFX90A:ACCUM_OFFSET: 3
; COMPUTE_PGM_RSRC3_GFX90A:TG_SPLIT: 0
	.section	.text._ZL33flash_attn_stream_k_fixup_generalILi64ELi2ELi1EEvPfPK15HIP_vector_typeIfLj2EEiiiiS1_IjLj3EES5_S5_S5_,"axG",@progbits,_ZL33flash_attn_stream_k_fixup_generalILi64ELi2ELi1EEvPfPK15HIP_vector_typeIfLj2EEiiiiS1_IjLj3EES5_S5_S5_,comdat
	.globl	_ZL33flash_attn_stream_k_fixup_generalILi64ELi2ELi1EEvPfPK15HIP_vector_typeIfLj2EEiiiiS1_IjLj3EES5_S5_S5_ ; -- Begin function _ZL33flash_attn_stream_k_fixup_generalILi64ELi2ELi1EEvPfPK15HIP_vector_typeIfLj2EEiiiiS1_IjLj3EES5_S5_S5_
	.p2align	8
	.type	_ZL33flash_attn_stream_k_fixup_generalILi64ELi2ELi1EEvPfPK15HIP_vector_typeIfLj2EEiiiiS1_IjLj3EES5_S5_S5_,@function
_ZL33flash_attn_stream_k_fixup_generalILi64ELi2ELi1EEvPfPK15HIP_vector_typeIfLj2EEiiiiS1_IjLj3EES5_S5_S5_: ; @_ZL33flash_attn_stream_k_fixup_generalILi64ELi2ELi1EEvPfPK15HIP_vector_typeIfLj2EEiiiiS1_IjLj3EES5_S5_S5_
; %bb.0:
	s_load_dwordx4 s[12:15], s[0:1], 0x10
	s_load_dword s5, s[0:1], 0x50
	s_mov_b32 s8, 0
	s_waitcnt lgkmcnt(0)
	s_mul_hi_i32 s9, s15, s2
	s_cmp_lg_u64 s[8:9], 0
	s_mul_i32 s8, s15, s2
	s_cbranch_scc0 .LBB12_21
; %bb.1:
	v_cvt_f32_u32_e32 v1, s5
	v_cvt_f32_ubyte0_e32 v2, 0
	s_sub_u32 s10, 0, s5
	s_subb_u32 s11, 0, 0
	v_fmamk_f32 v1, v2, 0x4f800000, v1
	v_rcp_f32_e32 v1, v1
	s_nop 0
	v_mul_f32_e32 v1, 0x5f7ffffc, v1
	v_mul_f32_e32 v2, 0x2f800000, v1
	v_trunc_f32_e32 v2, v2
	v_fmamk_f32 v1, v2, 0xcf800000, v1
	v_cvt_u32_f32_e32 v2, v2
	v_cvt_u32_f32_e32 v1, v1
	v_readfirstlane_b32 s16, v2
	v_readfirstlane_b32 s17, v1
	s_mul_i32 s18, s10, s16
	s_mul_hi_u32 s20, s10, s17
	s_mul_i32 s19, s11, s17
	s_add_i32 s18, s20, s18
	s_add_i32 s18, s18, s19
	s_mul_i32 s21, s10, s17
	s_mul_hi_u32 s19, s17, s18
	s_mul_i32 s20, s17, s18
	s_mul_hi_u32 s17, s17, s21
	s_add_u32 s17, s17, s20
	s_addc_u32 s19, 0, s19
	s_mul_hi_u32 s22, s16, s21
	s_mul_i32 s21, s16, s21
	s_add_u32 s17, s17, s21
	s_mul_hi_u32 s20, s16, s18
	s_addc_u32 s17, s19, s22
	s_addc_u32 s19, s20, 0
	s_mul_i32 s18, s16, s18
	s_add_u32 s17, s17, s18
	s_addc_u32 s18, 0, s19
	v_add_co_u32_e32 v1, vcc, s17, v1
	s_cmp_lg_u64 vcc, 0
	s_addc_u32 s16, s16, s18
	v_readfirstlane_b32 s18, v1
	s_mul_i32 s17, s10, s16
	s_mul_hi_u32 s19, s10, s18
	s_add_i32 s17, s19, s17
	s_mul_i32 s11, s11, s18
	s_add_i32 s17, s17, s11
	s_mul_i32 s10, s10, s18
	s_mul_hi_u32 s19, s16, s10
	s_mul_i32 s20, s16, s10
	s_mul_i32 s22, s18, s17
	s_mul_hi_u32 s10, s18, s10
	s_mul_hi_u32 s21, s18, s17
	s_add_u32 s10, s10, s22
	s_addc_u32 s18, 0, s21
	s_add_u32 s10, s10, s20
	s_mul_hi_u32 s11, s16, s17
	s_addc_u32 s10, s18, s19
	s_addc_u32 s11, s11, 0
	s_mul_i32 s17, s16, s17
	s_add_u32 s10, s10, s17
	s_addc_u32 s11, 0, s11
	v_add_co_u32_e32 v1, vcc, s10, v1
	s_cmp_lg_u64 vcc, 0
	s_addc_u32 s18, s16, s11
	s_ashr_i32 s10, s9, 31
	s_add_u32 s16, s8, s10
	s_mov_b32 s11, s10
	s_addc_u32 s17, s9, s10
	s_xor_b64 s[16:17], s[16:17], s[10:11]
	v_readfirstlane_b32 s20, v1
	s_mul_i32 s19, s16, s18
	s_mul_hi_u32 s21, s16, s20
	s_mul_hi_u32 s9, s16, s18
	s_add_u32 s19, s21, s19
	s_addc_u32 s9, 0, s9
	s_mul_hi_u32 s22, s17, s20
	s_mul_i32 s20, s17, s20
	s_add_u32 s19, s19, s20
	s_mul_hi_u32 s21, s17, s18
	s_addc_u32 s9, s9, s22
	s_addc_u32 s19, s21, 0
	s_mul_i32 s18, s17, s18
	s_add_u32 s9, s9, s18
	s_addc_u32 s18, 0, s19
	s_add_u32 s19, s9, 1
	s_addc_u32 s20, s18, 0
	s_add_u32 s21, s9, 2
	s_mul_i32 s23, s5, s18
	s_mul_hi_u32 s24, s5, s9
	s_addc_u32 s22, s18, 0
	s_add_i32 s24, s24, s23
	s_mul_i32 s23, s5, s9
	v_mov_b32_e32 v1, s23
	v_sub_co_u32_e32 v1, vcc, s16, v1
	s_cmp_lg_u64 vcc, 0
	s_subb_u32 s16, s17, s24
	v_subrev_co_u32_e32 v2, vcc, s5, v1
	s_cmp_lg_u64 vcc, 0
	s_subb_u32 s17, s16, 0
	v_readfirstlane_b32 s23, v2
	s_cmp_ge_u32 s23, s5
	s_cselect_b32 s23, -1, 0
	s_cmp_eq_u32 s17, 0
	s_cselect_b32 s17, s23, -1
	s_cmp_lg_u32 s17, 0
	s_cselect_b32 s17, s22, s20
	v_readfirstlane_b32 s20, v1
	s_cselect_b32 s19, s21, s19
	s_cmp_ge_u32 s20, s5
	s_cselect_b32 s20, -1, 0
	s_cmp_eq_u32 s16, 0
	s_cselect_b32 s16, s20, -1
	s_cmp_lg_u32 s16, 0
	s_cselect_b32 s17, s17, s18
	s_cselect_b32 s16, s19, s9
	s_xor_b64 s[16:17], s[16:17], s[10:11]
	s_sub_u32 s20, s16, s10
	s_load_dwordx4 s[16:19], s[0:1], 0x44
	s_cbranch_execnz .LBB12_3
.LBB12_2:
	v_cvt_f32_u32_e32 v1, s5
	s_sub_i32 s6, 0, s5
	v_rcp_iflag_f32_e32 v1, v1
	s_nop 0
	v_mul_f32_e32 v1, 0x4f7ffffe, v1
	v_cvt_u32_f32_e32 v1, v1
	s_nop 0
	v_readfirstlane_b32 s7, v1
	s_mul_i32 s6, s6, s7
	s_mul_hi_u32 s6, s7, s6
	s_add_i32 s7, s7, s6
	s_mul_hi_u32 s6, s8, s7
	s_mul_i32 s9, s6, s5
	s_sub_i32 s8, s8, s9
	s_add_i32 s7, s6, 1
	s_sub_i32 s9, s8, s5
	s_cmp_ge_u32 s8, s5
	s_cselect_b32 s6, s7, s6
	s_cselect_b32 s8, s9, s8
	s_add_i32 s7, s6, 1
	s_cmp_ge_u32 s8, s5
	s_cselect_b32 s20, s7, s6
.LBB12_3:
	s_add_i32 s6, s2, 1
	s_mul_hi_i32 s9, s15, s6
	s_mov_b32 s8, 0
	s_cmp_lg_u64 s[8:9], 0
	s_mul_i32 s8, s15, s6
	s_cbranch_scc0 .LBB12_22
; %bb.4:
	v_cvt_f32_u32_e32 v1, s5
	v_cvt_f32_ubyte0_e32 v2, 0
	s_sub_u32 s10, 0, s5
	s_subb_u32 s11, 0, 0
	v_fmamk_f32 v1, v2, 0x4f800000, v1
	v_rcp_f32_e32 v1, v1
	s_nop 0
	v_mul_f32_e32 v1, 0x5f7ffffc, v1
	v_mul_f32_e32 v2, 0x2f800000, v1
	v_trunc_f32_e32 v2, v2
	v_fmamk_f32 v1, v2, 0xcf800000, v1
	v_cvt_u32_f32_e32 v2, v2
	v_cvt_u32_f32_e32 v1, v1
	s_waitcnt lgkmcnt(0)
	v_readfirstlane_b32 s19, v2
	v_readfirstlane_b32 s21, v1
	s_mul_i32 s22, s10, s19
	s_mul_hi_u32 s24, s10, s21
	s_mul_i32 s23, s11, s21
	s_add_i32 s22, s24, s22
	s_add_i32 s22, s22, s23
	s_mul_i32 s25, s10, s21
	s_mul_hi_u32 s23, s21, s22
	s_mul_i32 s24, s21, s22
	s_mul_hi_u32 s21, s21, s25
	s_add_u32 s21, s21, s24
	s_addc_u32 s23, 0, s23
	s_mul_hi_u32 s26, s19, s25
	s_mul_i32 s25, s19, s25
	s_add_u32 s21, s21, s25
	s_mul_hi_u32 s24, s19, s22
	s_addc_u32 s21, s23, s26
	s_addc_u32 s23, s24, 0
	s_mul_i32 s22, s19, s22
	s_add_u32 s21, s21, s22
	s_addc_u32 s22, 0, s23
	v_add_co_u32_e32 v1, vcc, s21, v1
	s_cmp_lg_u64 vcc, 0
	s_addc_u32 s19, s19, s22
	v_readfirstlane_b32 s22, v1
	s_mul_i32 s21, s10, s19
	s_mul_hi_u32 s23, s10, s22
	s_add_i32 s21, s23, s21
	s_mul_i32 s11, s11, s22
	s_add_i32 s21, s21, s11
	s_mul_i32 s10, s10, s22
	s_mul_hi_u32 s23, s19, s10
	s_mul_i32 s24, s19, s10
	s_mul_i32 s26, s22, s21
	s_mul_hi_u32 s10, s22, s10
	s_mul_hi_u32 s25, s22, s21
	s_add_u32 s10, s10, s26
	s_addc_u32 s22, 0, s25
	s_add_u32 s10, s10, s24
	s_mul_hi_u32 s11, s19, s21
	s_addc_u32 s10, s22, s23
	s_addc_u32 s11, s11, 0
	s_mul_i32 s21, s19, s21
	s_add_u32 s10, s10, s21
	s_addc_u32 s11, 0, s11
	v_add_co_u32_e32 v1, vcc, s10, v1
	s_cmp_lg_u64 vcc, 0
	s_addc_u32 s19, s19, s11
	s_ashr_i32 s10, s9, 31
	s_add_u32 s22, s8, s10
	s_mov_b32 s11, s10
	s_addc_u32 s23, s9, s10
	s_xor_b64 s[22:23], s[22:23], s[10:11]
	v_readfirstlane_b32 s21, v1
	s_mul_i32 s11, s22, s19
	s_mul_hi_u32 s24, s22, s21
	s_mul_hi_u32 s9, s22, s19
	s_add_u32 s11, s24, s11
	s_addc_u32 s9, 0, s9
	s_mul_hi_u32 s25, s23, s21
	s_mul_i32 s21, s23, s21
	s_add_u32 s11, s11, s21
	s_mul_hi_u32 s24, s23, s19
	s_addc_u32 s9, s9, s25
	s_addc_u32 s11, s24, 0
	s_mul_i32 s19, s23, s19
	s_add_u32 s9, s9, s19
	s_addc_u32 s11, 0, s11
	s_mul_i32 s11, s5, s11
	s_mul_hi_u32 s24, s5, s9
	s_add_i32 s24, s24, s11
	s_mul_i32 s11, s5, s9
	v_mov_b32_e32 v1, s11
	s_add_u32 s19, s9, 1
	s_add_u32 s21, s9, 2
	v_sub_co_u32_e32 v1, vcc, s22, v1
	s_cmp_lg_u64 vcc, 0
	s_subb_u32 s11, s23, s24
	v_subrev_co_u32_e32 v2, vcc, s5, v1
	s_cmp_lg_u64 vcc, 0
	s_subb_u32 s22, s11, 0
	v_cmp_le_u32_e32 vcc, s5, v2
	s_cmp_eq_u32 s22, 0
	v_mov_b32_e32 v3, s19
	v_cndmask_b32_e64 v2, 0, -1, vcc
	s_cselect_b64 vcc, -1, 0
	v_cndmask_b32_e32 v2, -1, v2, vcc
	v_mov_b32_e32 v4, s21
	v_cmp_ne_u32_e32 vcc, 0, v2
	s_cmp_eq_u32 s11, 0
	s_nop 0
	v_cndmask_b32_e32 v2, v3, v4, vcc
	v_cmp_le_u32_e32 vcc, s5, v1
	v_mov_b32_e32 v3, s9
	s_nop 0
	v_cndmask_b32_e64 v1, 0, -1, vcc
	s_cselect_b64 vcc, -1, 0
	v_cndmask_b32_e32 v1, -1, v1, vcc
	v_cmp_ne_u32_e32 vcc, 0, v1
	s_nop 1
	v_cndmask_b32_e32 v1, v3, v2, vcc
	v_xor_b32_e32 v1, s10, v1
	v_subrev_co_u32_e32 v2, vcc, s10, v1
	s_cbranch_execnz .LBB12_6
.LBB12_5:
	v_cvt_f32_u32_e32 v1, s5
	s_sub_i32 s6, 0, s5
	s_mov_b32 s7, 0
	v_rcp_iflag_f32_e32 v1, v1
	s_nop 0
	v_mul_f32_e32 v1, 0x4f7ffffe, v1
	v_cvt_u32_f32_e32 v1, v1
	s_nop 0
	v_readfirstlane_b32 s9, v1
	s_mul_i32 s6, s6, s9
	s_mul_hi_u32 s6, s9, s6
	s_add_i32 s9, s9, s6
	s_mul_hi_u32 s6, s8, s9
	s_mul_i32 s10, s6, s5
	s_sub_i32 s8, s8, s10
	s_add_i32 s9, s6, 1
	s_sub_i32 s10, s8, s5
	s_cmp_ge_u32 s8, s5
	s_cselect_b32 s6, s9, s6
	s_cselect_b32 s8, s10, s8
	s_add_i32 s9, s6, 1
	s_cmp_ge_u32 s8, s5
	s_cselect_b32 s6, s9, s6
	v_mov_b64_e32 v[2:3], s[6:7]
.LBB12_6:
	s_waitcnt lgkmcnt(0)
	s_mul_hi_u32 s6, s20, s16
	s_add_i32 s6, s6, s20
	v_mul_hi_u32 v1, v2, s16
	s_lshr_b32 s19, s6, s17
	v_add_u32_e32 v1, v1, v2
	s_mul_i32 s6, s19, s18
	v_lshrrev_b32_e32 v1, s17, v1
	s_cmp_eq_u32 s6, s20
	v_cmp_eq_u32_e64 s[6:7], s19, v1
	v_mul_lo_u32 v1, v1, s18
	v_cmp_eq_u32_e32 vcc, s20, v2
	s_cselect_b64 s[10:11], -1, 0
	v_cmp_ne_u32_e64 s[8:9], v1, v2
	s_and_b64 s[6:7], s[6:7], s[8:9]
	s_or_b64 s[8:9], vcc, s[10:11]
	s_or_b64 s[6:7], s[8:9], s[6:7]
	s_and_b64 vcc, exec, s[6:7]
	s_cbranch_vccnz .LBB12_24
; %bb.7:
	s_load_dwordx8 s[24:31], s[0:1], 0x20
	s_load_dword s6, s[0:1], 0x40
	s_waitcnt lgkmcnt(0)
	s_mul_hi_u32 s7, s20, s24
	s_add_i32 s7, s7, s20
	s_lshr_b32 s7, s7, s25
	s_mul_i32 s8, s7, s26
	s_sub_i32 s8, s20, s8
	s_mul_hi_u32 s9, s8, s27
	s_add_i32 s9, s8, s9
	s_lshr_b32 s23, s9, s28
	s_mul_i32 s9, s23, s29
	s_sub_i32 s8, s8, s9
	;; [unrolled: 5-line block ×3, first 2 shown]
	s_mul_hi_u32 s8, s6, s16
	s_add_i32 s6, s6, s8
	s_lshr_b32 s24, s6, s17
	s_lshl_b32 s6, s24, 1
	s_add_i32 s6, s6, s3
	s_cmp_lt_i32 s6, s12
	s_cselect_b64 s[8:9], -1, 0
	s_add_i32 s6, s22, s4
	s_cmp_lt_i32 s6, s14
	s_cselect_b64 s[10:11], -1, 0
	s_and_b64 s[8:9], s[8:9], s[10:11]
	s_andn2_b64 vcc, exec, s[8:9]
	s_mov_b32 s6, 0
	s_cbranch_vccnz .LBB12_24
; %bb.8:
	s_load_dwordx4 s[8:11], s[0:1], 0x0
	s_lshl_b32 s0, s5, 3
	s_mov_b32 s1, s6
	s_add_i32 s21, s3, s4
	s_lshl_b64 s[0:1], s[0:1], 2
	s_waitcnt lgkmcnt(0)
	v_mov_b32_e32 v2, s8
	s_add_u32 s8, s10, s0
	s_mul_i32 s0, s7, s12
	v_mov_b32_e32 v3, s9
	s_addc_u32 s9, s11, s1
	s_add_i32 s0, s0, s3
	s_mul_i32 s0, s0, s13
	s_mul_i32 s23, s23, s14
	s_add_i32 s0, s0, s4
	s_add_i32 s0, s0, s23
	s_mul_i32 s1, s13, s24
	s_add_i32 s0, s0, s22
	s_lshl_b32 s1, s1, 7
	s_lshl_b32 s0, s0, 6
	s_add_i32 s1, s1, s0
	v_or_b32_e32 v4, s1, v0
	v_ashrrev_i32_e32 v5, 31, v4
	v_lshl_add_u64 v[2:3], v[4:5], 2, v[2:3]
	global_load_dword v5, v[2:3], off
	v_lshl_or_b32 v4, s21, 6, v0
	v_cvt_f32_u32_e32 v0, s5
	v_cvt_f32_ubyte0_e32 v1, 0
	s_lshl_b32 s0, s2, 1
	s_add_i32 s0, s0, s21
	v_fmac_f32_e32 v0, 0x4f800000, v1
	v_rcp_f32_e32 v0, v0
	v_cvt_f32_u32_e32 v1, s5
	s_ashr_i32 s1, s0, 31
	s_lshl_b64 s[0:1], s[0:1], 3
	v_mul_f32_e32 v0, 0x5f7ffffc, v0
	v_rcp_iflag_f32_e32 v1, v1
	s_add_u32 s0, s10, s0
	v_mul_f32_e32 v9, 0x2f800000, v0
	s_addc_u32 s1, s11, s1
	v_trunc_f32_e32 v10, v9
	s_load_dwordx2 s[0:1], s[0:1], 0x0
	v_fmac_f32_e32 v0, 0xcf800000, v10
	v_cvt_u32_f32_e32 v9, v0
	v_mul_f32_e32 v0, 0x4f7ffffe, v1
	v_cvt_u32_f32_e32 v10, v10
	v_cvt_u32_f32_e32 v11, v0
	s_add_i32 s13, s2, -1
	s_waitcnt lgkmcnt(0)
	v_mov_b32_e32 v6, s1
	v_mov_b32_e32 v7, s0
	;; [unrolled: 1-line block ×3, first 2 shown]
	s_mov_b32 s4, 0x3fb8aa3b
	s_mov_b32 s12, 0xc2ce8ed0
	;; [unrolled: 1-line block ×4, first 2 shown]
	v_mov_b32_e32 v12, 0x7f800000
	s_mul_hi_i32 s7, s13, s15
	s_cmp_lg_u64 s[6:7], 0
	s_mul_i32 s2, s13, s15
	s_cbranch_scc0 .LBB12_15
.LBB12_9:
	s_sub_u32 s0, 0, s5
	v_readfirstlane_b32 s3, v9
	v_readfirstlane_b32 s24, v10
	s_subb_u32 s1, 0, 0
	s_mul_hi_u32 s23, s0, s3
	s_mul_i32 s25, s0, s24
	s_mul_i32 s22, s1, s3
	s_add_i32 s23, s23, s25
	s_add_i32 s23, s23, s22
	s_mul_i32 s26, s0, s3
	s_mul_hi_u32 s22, s3, s23
	s_mul_i32 s25, s3, s23
	s_mul_hi_u32 s3, s3, s26
	s_add_u32 s3, s3, s25
	s_addc_u32 s22, 0, s22
	s_mul_hi_u32 s27, s24, s26
	s_mul_i32 s26, s24, s26
	s_add_u32 s3, s3, s26
	s_mul_hi_u32 s25, s24, s23
	s_addc_u32 s3, s22, s27
	s_addc_u32 s22, s25, 0
	s_mul_i32 s23, s24, s23
	s_add_u32 s3, s3, s23
	s_addc_u32 s22, 0, s22
	v_add_co_u32_e32 v0, vcc, s3, v9
	s_cmp_lg_u64 vcc, 0
	s_addc_u32 s3, s24, s22
	v_readfirstlane_b32 s23, v0
	s_mul_i32 s22, s0, s3
	s_mul_hi_u32 s24, s0, s23
	s_add_i32 s22, s24, s22
	s_mul_i32 s1, s1, s23
	s_add_i32 s22, s22, s1
	s_mul_i32 s0, s0, s23
	s_mul_hi_u32 s24, s3, s0
	s_mul_i32 s25, s3, s0
	s_mul_i32 s27, s23, s22
	s_mul_hi_u32 s0, s23, s0
	s_mul_hi_u32 s26, s23, s22
	s_add_u32 s0, s0, s27
	s_addc_u32 s23, 0, s26
	s_add_u32 s0, s0, s25
	s_mul_hi_u32 s1, s3, s22
	s_addc_u32 s0, s23, s24
	s_addc_u32 s1, s1, 0
	s_mul_i32 s22, s3, s22
	s_add_u32 s0, s0, s22
	s_addc_u32 s1, 0, s1
	v_add_co_u32_e32 v0, vcc, s0, v0
	s_cmp_lg_u64 vcc, 0
	s_addc_u32 s3, s3, s1
	s_ashr_i32 s0, s7, 31
	s_add_u32 s22, s2, s0
	s_mov_b32 s1, s0
	s_addc_u32 s23, s7, s0
	s_xor_b64 s[22:23], s[22:23], s[0:1]
	v_readfirstlane_b32 s24, v0
	s_mul_i32 s7, s22, s3
	s_mul_hi_u32 s25, s22, s24
	s_mul_hi_u32 s1, s22, s3
	s_add_u32 s7, s25, s7
	s_addc_u32 s1, 0, s1
	s_mul_hi_u32 s26, s23, s24
	s_mul_i32 s24, s23, s24
	s_add_u32 s7, s7, s24
	s_mul_hi_u32 s25, s23, s3
	s_addc_u32 s1, s1, s26
	s_addc_u32 s7, s25, 0
	s_mul_i32 s3, s23, s3
	s_add_u32 s1, s1, s3
	s_addc_u32 s3, 0, s7
	s_mul_i32 s3, s5, s3
	s_mul_hi_u32 s25, s5, s1
	s_add_i32 s25, s25, s3
	s_mul_i32 s3, s5, s1
	v_mov_b32_e32 v0, s3
	s_add_u32 s7, s1, 1
	s_add_u32 s24, s1, 2
	v_sub_co_u32_e32 v0, vcc, s22, v0
	s_cmp_lg_u64 vcc, 0
	s_subb_u32 s3, s23, s25
	v_subrev_co_u32_e32 v1, vcc, s5, v0
	s_cmp_lg_u64 vcc, 0
	s_subb_u32 s22, s3, 0
	v_cmp_le_u32_e32 vcc, s5, v1
	s_cmp_eq_u32 s22, 0
	v_mov_b32_e32 v13, s7
	v_cndmask_b32_e64 v1, 0, -1, vcc
	s_cselect_b64 vcc, -1, 0
	v_cndmask_b32_e32 v1, -1, v1, vcc
	v_mov_b32_e32 v14, s24
	v_cmp_ne_u32_e32 vcc, 0, v1
	s_cmp_eq_u32 s3, 0
	s_nop 0
	v_cndmask_b32_e32 v1, v13, v14, vcc
	v_cmp_le_u32_e32 vcc, s5, v0
	v_mov_b32_e32 v13, s1
	s_nop 0
	v_cndmask_b32_e64 v0, 0, -1, vcc
	s_cselect_b64 vcc, -1, 0
	v_cndmask_b32_e32 v0, -1, v0, vcc
	v_cmp_ne_u32_e32 vcc, 0, v0
	s_nop 1
	v_cndmask_b32_e32 v0, v13, v1, vcc
	v_xor_b32_e32 v0, s0, v0
	v_subrev_co_u32_e32 v0, vcc, s0, v0
	s_cbranch_execnz .LBB12_11
.LBB12_10:
	s_sub_i32 s0, 0, s5
	v_mul_lo_u32 v0, s0, v11
	v_mul_hi_u32 v0, v11, v0
	v_add_u32_e32 v0, v11, v0
	v_mul_hi_u32 v0, s2, v0
	v_mul_lo_u32 v13, v0, s5
	v_sub_u32_e32 v13, s2, v13
	v_add_u32_e32 v1, 1, v0
	v_subrev_u32_e32 v14, s5, v13
	v_cmp_le_u32_e32 vcc, s5, v13
	s_nop 1
	v_cndmask_b32_e32 v13, v13, v14, vcc
	v_cndmask_b32_e32 v0, v0, v1, vcc
	v_add_u32_e32 v1, 1, v0
	v_cmp_le_u32_e32 vcc, s5, v13
	s_nop 1
	v_cndmask_b32_e32 v0, v0, v1, vcc
.LBB12_11:
	v_cmp_ne_u32_e32 vcc, v8, v0
	s_cbranch_vccz .LBB12_14
; %bb.12:
	s_add_i32 s0, s13, s5
	s_lshl_b32 s0, s0, 1
	v_mul_hi_u32 v1, v0, s16
	s_add_i32 s0, s0, s21
	s_mov_b32 s1, s6
	v_add_u32_e32 v1, v1, v0
	s_lshl_b64 s[0:1], s[0:1], 3
	v_lshrrev_b32_e32 v1, s17, v1
	s_add_u32 s2, s10, s0
	v_mul_lo_u32 v13, v1, s18
	s_addc_u32 s3, s11, s1
	v_cmp_eq_u32_e32 vcc, v13, v0
	v_cmp_gt_u32_e64 s[0:1], s19, v1
	s_or_b64 s[0:1], s[0:1], vcc
	s_and_b64 vcc, exec, s[0:1]
	s_cbranch_vccnz .LBB12_16
; %bb.13:
	s_add_i32 s7, s13, -1
	s_mov_b64 s[0:1], 0
	s_branch .LBB12_17
.LBB12_14:
                                        ; implicit-def: $sgpr0_sgpr1
                                        ; implicit-def: $vgpr14
                                        ; implicit-def: $vgpr1
                                        ; implicit-def: $vgpr13
                                        ; implicit-def: $sgpr7
                                        ; implicit-def: $vgpr0
	s_branch .LBB12_18
.LBB12_15:
                                        ; implicit-def: $vgpr0_vgpr1
	s_branch .LBB12_10
.LBB12_16:
	s_mov_b64 s[0:1], -1
	s_mov_b32 s7, s13
	v_mov_b32_e32 v0, v8
.LBB12_17:
	v_lshl_add_u32 v14, s13, 7, v4
	v_ashrrev_i32_e32 v15, 31, v14
	v_lshl_add_u64 v[14:15], v[14:15], 2, s[8:9]
	global_load_dword v14, v[14:15], off
	s_load_dwordx2 s[2:3], s[2:3], 0x0
	v_max_f32_e32 v1, v7, v7
	s_waitcnt lgkmcnt(0)
	v_max_f32_e64 v13, s2, s2
	v_max_f32_e32 v1, v1, v13
	v_sub_f32_e32 v13, v7, v1
	v_sub_f32_e32 v15, s2, v1
	v_mul_f32_e32 v16, 0x3fb8aa3b, v13
	v_mul_f32_e32 v17, 0x3fb8aa3b, v15
	v_fma_f32 v18, v13, s4, -v16
	v_rndne_f32_e32 v19, v16
	v_fma_f32 v20, v15, s4, -v17
	v_rndne_f32_e32 v21, v17
	v_fmac_f32_e32 v18, 0x32a5705f, v13
	v_sub_f32_e32 v16, v16, v19
	v_fmac_f32_e32 v20, 0x32a5705f, v15
	v_sub_f32_e32 v17, v17, v21
	v_add_f32_e32 v16, v16, v18
	v_cvt_i32_f32_e32 v19, v19
	v_add_f32_e32 v17, v17, v20
	v_exp_f32_e32 v16, v16
	v_cvt_i32_f32_e32 v21, v21
	v_exp_f32_e32 v17, v17
	v_cmp_ngt_f32_e32 vcc, s12, v13
	v_ldexp_f32 v16, v16, v19
	v_ldexp_f32 v17, v17, v21
	v_cndmask_b32_e32 v16, 0, v16, vcc
	v_cmp_ngt_f32_e32 vcc, s12, v15
	s_nop 1
	v_cndmask_b32_e32 v17, 0, v17, vcc
	v_cmp_nlt_f32_e32 vcc, s14, v13
	s_nop 1
	v_cndmask_b32_e32 v16, v12, v16, vcc
	v_cmp_nlt_f32_e32 vcc, s14, v15
	s_nop 1
	v_cndmask_b32_e32 v17, v12, v17, vcc
	v_cmp_le_f32_e32 vcc, s20, v13
	s_nop 1
	v_cndmask_b32_e32 v16, 0, v16, vcc
	v_cmp_le_f32_e32 vcc, s20, v15
	s_nop 1
	v_cndmask_b32_e32 v15, 0, v17, vcc
	v_mul_f32_e32 v13, s3, v15
	v_fmac_f32_e32 v13, v6, v16
	s_waitcnt vmcnt(0)
	v_mul_f32_e32 v14, v14, v15
	v_fmac_f32_e32 v14, v5, v16
	s_cbranch_execnz .LBB12_19
.LBB12_18:
	s_add_i32 s7, s13, -1
	s_mov_b64 s[0:1], 0
	v_mov_b32_e32 v0, v8
	v_mov_b32_e32 v13, v6
	;; [unrolled: 1-line block ×3, first 2 shown]
	s_waitcnt vmcnt(0)
	v_mov_b32_e32 v14, v5
.LBB12_19:
	s_andn2_b64 vcc, exec, s[0:1]
	s_cbranch_vccz .LBB12_23
; %bb.20:
	v_mov_b32_e32 v8, v0
	s_mov_b32 s13, s7
	v_mov_b32_e32 v6, v13
	v_mov_b32_e32 v7, v1
	s_waitcnt vmcnt(0)
	v_mov_b32_e32 v5, v14
	s_mul_hi_i32 s7, s13, s15
	s_cmp_lg_u64 s[6:7], 0
	s_mul_i32 s2, s13, s15
	s_cbranch_scc1 .LBB12_9
	s_branch .LBB12_15
.LBB12_21:
                                        ; implicit-def: $sgpr20_sgpr21
	s_load_dwordx4 s[16:19], s[0:1], 0x44
	s_branch .LBB12_2
.LBB12_22:
                                        ; implicit-def: $vgpr2_vgpr3
	s_branch .LBB12_5
.LBB12_23:
	v_div_scale_f32 v0, s[0:1], v13, v13, v14
	v_rcp_f32_e32 v1, v0
	v_div_scale_f32 v4, vcc, v14, v13, v14
	s_waitcnt vmcnt(0)
	v_fma_f32 v5, -v0, v1, 1.0
	v_fmac_f32_e32 v1, v5, v1
	v_mul_f32_e32 v5, v4, v1
	v_fma_f32 v6, -v0, v5, v4
	v_fmac_f32_e32 v5, v6, v1
	v_fma_f32 v0, -v0, v5, v4
	v_div_fmas_f32 v0, v0, v1, v5
	v_div_fixup_f32 v0, v0, v13, v14
	global_store_dword v[2:3], v0, off
.LBB12_24:
	s_endpgm
	.section	.rodata,"a",@progbits
	.p2align	6, 0x0
	.amdhsa_kernel _ZL33flash_attn_stream_k_fixup_generalILi64ELi2ELi1EEvPfPK15HIP_vector_typeIfLj2EEiiiiS1_IjLj3EES5_S5_S5_
		.amdhsa_group_segment_fixed_size 0
		.amdhsa_private_segment_fixed_size 0
		.amdhsa_kernarg_size 336
		.amdhsa_user_sgpr_count 2
		.amdhsa_user_sgpr_dispatch_ptr 0
		.amdhsa_user_sgpr_queue_ptr 0
		.amdhsa_user_sgpr_kernarg_segment_ptr 1
		.amdhsa_user_sgpr_dispatch_id 0
		.amdhsa_user_sgpr_kernarg_preload_length 0
		.amdhsa_user_sgpr_kernarg_preload_offset 0
		.amdhsa_user_sgpr_private_segment_size 0
		.amdhsa_uses_dynamic_stack 0
		.amdhsa_enable_private_segment 0
		.amdhsa_system_sgpr_workgroup_id_x 1
		.amdhsa_system_sgpr_workgroup_id_y 1
		.amdhsa_system_sgpr_workgroup_id_z 1
		.amdhsa_system_sgpr_workgroup_info 0
		.amdhsa_system_vgpr_workitem_id 0
		.amdhsa_next_free_vgpr 22
		.amdhsa_next_free_sgpr 32
		.amdhsa_accum_offset 24
		.amdhsa_reserve_vcc 1
		.amdhsa_float_round_mode_32 0
		.amdhsa_float_round_mode_16_64 0
		.amdhsa_float_denorm_mode_32 3
		.amdhsa_float_denorm_mode_16_64 3
		.amdhsa_dx10_clamp 1
		.amdhsa_ieee_mode 1
		.amdhsa_fp16_overflow 0
		.amdhsa_tg_split 0
		.amdhsa_exception_fp_ieee_invalid_op 0
		.amdhsa_exception_fp_denorm_src 0
		.amdhsa_exception_fp_ieee_div_zero 0
		.amdhsa_exception_fp_ieee_overflow 0
		.amdhsa_exception_fp_ieee_underflow 0
		.amdhsa_exception_fp_ieee_inexact 0
		.amdhsa_exception_int_div_zero 0
	.end_amdhsa_kernel
	.section	.text._ZL33flash_attn_stream_k_fixup_generalILi64ELi2ELi1EEvPfPK15HIP_vector_typeIfLj2EEiiiiS1_IjLj3EES5_S5_S5_,"axG",@progbits,_ZL33flash_attn_stream_k_fixup_generalILi64ELi2ELi1EEvPfPK15HIP_vector_typeIfLj2EEiiiiS1_IjLj3EES5_S5_S5_,comdat
.Lfunc_end12:
	.size	_ZL33flash_attn_stream_k_fixup_generalILi64ELi2ELi1EEvPfPK15HIP_vector_typeIfLj2EEiiiiS1_IjLj3EES5_S5_S5_, .Lfunc_end12-_ZL33flash_attn_stream_k_fixup_generalILi64ELi2ELi1EEvPfPK15HIP_vector_typeIfLj2EEiiiiS1_IjLj3EES5_S5_S5_
                                        ; -- End function
	.section	.AMDGPU.csdata,"",@progbits
; Kernel info:
; codeLenInByte = 2856
; NumSgprs: 38
; NumVgprs: 22
; NumAgprs: 0
; TotalNumVgprs: 22
; ScratchSize: 0
; MemoryBound: 0
; FloatMode: 240
; IeeeMode: 1
; LDSByteSize: 0 bytes/workgroup (compile time only)
; SGPRBlocks: 4
; VGPRBlocks: 2
; NumSGPRsForWavesPerEU: 38
; NumVGPRsForWavesPerEU: 22
; AccumOffset: 24
; Occupancy: 8
; WaveLimiterHint : 0
; COMPUTE_PGM_RSRC2:SCRATCH_EN: 0
; COMPUTE_PGM_RSRC2:USER_SGPR: 2
; COMPUTE_PGM_RSRC2:TRAP_HANDLER: 0
; COMPUTE_PGM_RSRC2:TGID_X_EN: 1
; COMPUTE_PGM_RSRC2:TGID_Y_EN: 1
; COMPUTE_PGM_RSRC2:TGID_Z_EN: 1
; COMPUTE_PGM_RSRC2:TIDIG_COMP_CNT: 0
; COMPUTE_PGM_RSRC3_GFX90A:ACCUM_OFFSET: 5
; COMPUTE_PGM_RSRC3_GFX90A:TG_SPLIT: 0
	.section	.text._ZL18flash_attn_ext_vecILi64ELi2EL9ggml_type2ELS0_30ELb1EEvPKcS2_S2_S2_S2_PKiPfP15HIP_vector_typeIfLj2EEffffjfiS6_IjLj3EEiiiiiiiiiiiliiliiiiil,"axG",@progbits,_ZL18flash_attn_ext_vecILi64ELi2EL9ggml_type2ELS0_30ELb1EEvPKcS2_S2_S2_S2_PKiPfP15HIP_vector_typeIfLj2EEffffjfiS6_IjLj3EEiiiiiiiiiiiliiliiiiil,comdat
	.globl	_ZL18flash_attn_ext_vecILi64ELi2EL9ggml_type2ELS0_30ELb1EEvPKcS2_S2_S2_S2_PKiPfP15HIP_vector_typeIfLj2EEffffjfiS6_IjLj3EEiiiiiiiiiiiliiliiiiil ; -- Begin function _ZL18flash_attn_ext_vecILi64ELi2EL9ggml_type2ELS0_30ELb1EEvPKcS2_S2_S2_S2_PKiPfP15HIP_vector_typeIfLj2EEffffjfiS6_IjLj3EEiiiiiiiiiiiliiliiiiil
	.p2align	8
	.type	_ZL18flash_attn_ext_vecILi64ELi2EL9ggml_type2ELS0_30ELb1EEvPKcS2_S2_S2_S2_PKiPfP15HIP_vector_typeIfLj2EEffffjfiS6_IjLj3EEiiiiiiiiiiiliiliiiiil,@function
_ZL18flash_attn_ext_vecILi64ELi2EL9ggml_type2ELS0_30ELb1EEvPKcS2_S2_S2_S2_PKiPfP15HIP_vector_typeIfLj2EEffffjfiS6_IjLj3EEiiiiiiiiiiiliiliiiiil: ; @_ZL18flash_attn_ext_vecILi64ELi2EL9ggml_type2ELS0_30ELb1EEvPKcS2_S2_S2_S2_PKiPfP15HIP_vector_typeIfLj2EEffffjfiS6_IjLj3EEiiiiiiiiiiiliiliiiiil
; %bb.0:
	s_add_u32 s8, s0, 0xd0
	s_addc_u32 s9, s1, 0
	s_mov_b32 s32, 0
	s_getpc_b64 s[0:1]
	s_add_u32 s0, s0, _ZL14no_device_codePKciS0_iS0_@rel32@lo+4
	s_addc_u32 s1, s1, _ZL14no_device_codePKciS0_iS0_@rel32@hi+12
	s_swappc_b64 s[30:31], s[0:1]
	.section	.rodata,"a",@progbits
	.p2align	6, 0x0
	.amdhsa_kernel _ZL18flash_attn_ext_vecILi64ELi2EL9ggml_type2ELS0_30ELb1EEvPKcS2_S2_S2_S2_PKiPfP15HIP_vector_typeIfLj2EEffffjfiS6_IjLj3EEiiiiiiiiiiiliiliiiiil
		.amdhsa_group_segment_fixed_size 0
		.amdhsa_private_segment_fixed_size 16
		.amdhsa_kernarg_size 464
		.amdhsa_user_sgpr_count 2
		.amdhsa_user_sgpr_dispatch_ptr 0
		.amdhsa_user_sgpr_queue_ptr 0
		.amdhsa_user_sgpr_kernarg_segment_ptr 1
		.amdhsa_user_sgpr_dispatch_id 0
		.amdhsa_user_sgpr_kernarg_preload_length 0
		.amdhsa_user_sgpr_kernarg_preload_offset 0
		.amdhsa_user_sgpr_private_segment_size 0
		.amdhsa_uses_dynamic_stack 0
		.amdhsa_enable_private_segment 1
		.amdhsa_system_sgpr_workgroup_id_x 1
		.amdhsa_system_sgpr_workgroup_id_y 0
		.amdhsa_system_sgpr_workgroup_id_z 0
		.amdhsa_system_sgpr_workgroup_info 0
		.amdhsa_system_vgpr_workitem_id 0
		.amdhsa_next_free_vgpr 39
		.amdhsa_next_free_sgpr 34
		.amdhsa_accum_offset 40
		.amdhsa_reserve_vcc 1
		.amdhsa_float_round_mode_32 0
		.amdhsa_float_round_mode_16_64 0
		.amdhsa_float_denorm_mode_32 3
		.amdhsa_float_denorm_mode_16_64 3
		.amdhsa_dx10_clamp 1
		.amdhsa_ieee_mode 1
		.amdhsa_fp16_overflow 0
		.amdhsa_tg_split 0
		.amdhsa_exception_fp_ieee_invalid_op 0
		.amdhsa_exception_fp_denorm_src 0
		.amdhsa_exception_fp_ieee_div_zero 0
		.amdhsa_exception_fp_ieee_overflow 0
		.amdhsa_exception_fp_ieee_underflow 0
		.amdhsa_exception_fp_ieee_inexact 0
		.amdhsa_exception_int_div_zero 0
	.end_amdhsa_kernel
	.section	.text._ZL18flash_attn_ext_vecILi64ELi2EL9ggml_type2ELS0_30ELb1EEvPKcS2_S2_S2_S2_PKiPfP15HIP_vector_typeIfLj2EEffffjfiS6_IjLj3EEiiiiiiiiiiiliiliiiiil,"axG",@progbits,_ZL18flash_attn_ext_vecILi64ELi2EL9ggml_type2ELS0_30ELb1EEvPKcS2_S2_S2_S2_PKiPfP15HIP_vector_typeIfLj2EEffffjfiS6_IjLj3EEiiiiiiiiiiiliiliiiiil,comdat
.Lfunc_end13:
	.size	_ZL18flash_attn_ext_vecILi64ELi2EL9ggml_type2ELS0_30ELb1EEvPKcS2_S2_S2_S2_PKiPfP15HIP_vector_typeIfLj2EEffffjfiS6_IjLj3EEiiiiiiiiiiiliiliiiiil, .Lfunc_end13-_ZL18flash_attn_ext_vecILi64ELi2EL9ggml_type2ELS0_30ELb1EEvPKcS2_S2_S2_S2_PKiPfP15HIP_vector_typeIfLj2EEffffjfiS6_IjLj3EEiiiiiiiiiiiliiliiiiil
                                        ; -- End function
	.section	.AMDGPU.csdata,"",@progbits
; Kernel info:
; codeLenInByte = 40
; NumSgprs: 40
; NumVgprs: 39
; NumAgprs: 0
; TotalNumVgprs: 39
; ScratchSize: 16
; MemoryBound: 0
; FloatMode: 240
; IeeeMode: 1
; LDSByteSize: 0 bytes/workgroup (compile time only)
; SGPRBlocks: 4
; VGPRBlocks: 4
; NumSGPRsForWavesPerEU: 40
; NumVGPRsForWavesPerEU: 39
; AccumOffset: 40
; Occupancy: 8
; WaveLimiterHint : 1
; COMPUTE_PGM_RSRC2:SCRATCH_EN: 1
; COMPUTE_PGM_RSRC2:USER_SGPR: 2
; COMPUTE_PGM_RSRC2:TRAP_HANDLER: 0
; COMPUTE_PGM_RSRC2:TGID_X_EN: 1
; COMPUTE_PGM_RSRC2:TGID_Y_EN: 0
; COMPUTE_PGM_RSRC2:TGID_Z_EN: 0
; COMPUTE_PGM_RSRC2:TIDIG_COMP_CNT: 0
; COMPUTE_PGM_RSRC3_GFX90A:ACCUM_OFFSET: 9
; COMPUTE_PGM_RSRC3_GFX90A:TG_SPLIT: 0
	.section	.text._ZL18flash_attn_ext_vecILi128ELi1EL9ggml_type2ELS0_30ELb0EEvPKcS2_S2_S2_S2_PKiPfP15HIP_vector_typeIfLj2EEffffjfiS6_IjLj3EEiiiiiiiiiiiliiliiiiil,"axG",@progbits,_ZL18flash_attn_ext_vecILi128ELi1EL9ggml_type2ELS0_30ELb0EEvPKcS2_S2_S2_S2_PKiPfP15HIP_vector_typeIfLj2EEffffjfiS6_IjLj3EEiiiiiiiiiiiliiliiiiil,comdat
	.globl	_ZL18flash_attn_ext_vecILi128ELi1EL9ggml_type2ELS0_30ELb0EEvPKcS2_S2_S2_S2_PKiPfP15HIP_vector_typeIfLj2EEffffjfiS6_IjLj3EEiiiiiiiiiiiliiliiiiil ; -- Begin function _ZL18flash_attn_ext_vecILi128ELi1EL9ggml_type2ELS0_30ELb0EEvPKcS2_S2_S2_S2_PKiPfP15HIP_vector_typeIfLj2EEffffjfiS6_IjLj3EEiiiiiiiiiiiliiliiiiil
	.p2align	8
	.type	_ZL18flash_attn_ext_vecILi128ELi1EL9ggml_type2ELS0_30ELb0EEvPKcS2_S2_S2_S2_PKiPfP15HIP_vector_typeIfLj2EEffffjfiS6_IjLj3EEiiiiiiiiiiiliiliiiiil,@function
_ZL18flash_attn_ext_vecILi128ELi1EL9ggml_type2ELS0_30ELb0EEvPKcS2_S2_S2_S2_PKiPfP15HIP_vector_typeIfLj2EEffffjfiS6_IjLj3EEiiiiiiiiiiiliiliiiiil: ; @_ZL18flash_attn_ext_vecILi128ELi1EL9ggml_type2ELS0_30ELb0EEvPKcS2_S2_S2_S2_PKiPfP15HIP_vector_typeIfLj2EEffffjfiS6_IjLj3EEiiiiiiiiiiiliiliiiiil
; %bb.0:
	s_load_dwordx2 s[34:35], s[0:1], 0x64
	s_load_dwordx2 s[42:43], s[0:1], 0x80
	;; [unrolled: 1-line block ×3, first 2 shown]
	v_mov_b32_e32 v58, 1.0
	s_waitcnt lgkmcnt(0)
	v_cvt_f32_u32_e32 v1, s35
	s_sub_i32 s5, 0, s35
	v_rcp_iflag_f32_e32 v1, v1
	s_nop 0
	v_mul_f32_e32 v1, 0x4f7ffffe, v1
	v_cvt_u32_f32_e32 v1, v1
	s_nop 0
	v_readfirstlane_b32 s6, v1
	s_mul_i32 s5, s5, s6
	s_mul_hi_u32 s5, s6, s5
	s_add_i32 s6, s6, s5
	s_mul_hi_u32 s5, s4, s6
	s_mul_i32 s6, s5, s35
	s_sub_i32 s6, s4, s6
	s_add_i32 s7, s5, 1
	s_sub_i32 s8, s6, s35
	s_cmp_ge_u32 s6, s35
	s_cselect_b32 s5, s7, s5
	s_cselect_b32 s6, s8, s6
	s_add_i32 s7, s5, 1
	s_cmp_ge_u32 s6, s35
	s_cselect_b32 s33, s7, s5
	s_abs_i32 s6, s43
	v_cvt_f32_u32_e32 v1, s6
	s_mul_i32 s9, s33, s35
	s_sub_i32 s16, 0, s6
	s_sub_i32 s40, s4, s9
	v_rcp_iflag_f32_e32 v1, v1
	s_abs_i32 s8, s35
	s_xor_b32 s7, s35, s43
	s_ashr_i32 s7, s7, 31
	v_mul_f32_e32 v1, 0x4f7ffffe, v1
	v_cvt_u32_f32_e32 v1, v1
	s_load_dwordx4 s[12:15], s[0:1], 0x40
	s_load_dword s5, s[0:1], 0x50
	v_readfirstlane_b32 s4, v1
	s_mul_i32 s16, s16, s4
	s_mul_hi_u32 s9, s4, s16
	s_add_i32 s4, s4, s9
	s_mul_hi_u32 s4, s8, s4
	s_mul_i32 s9, s4, s6
	s_sub_i32 s8, s8, s9
	s_add_i32 s16, s4, 1
	s_sub_i32 s9, s8, s6
	s_cmp_ge_u32 s8, s6
	s_cselect_b32 s4, s16, s4
	s_cselect_b32 s8, s9, s8
	s_add_i32 s9, s4, 1
	s_cmp_ge_u32 s8, s6
	s_cselect_b32 s4, s9, s4
	s_xor_b32 s4, s4, s7
	s_sub_i32 s36, s4, s7
	s_abs_i32 s44, s36
	s_abs_i32 s10, s10
	v_cvt_f32_u32_e32 v2, s44
	v_cvt_f32_u32_e32 v1, s10
	s_sub_i32 s6, 0, s44
	s_sub_i32 s4, 0, s10
	v_rcp_iflag_f32_e32 v2, v2
	v_rcp_iflag_f32_e32 v1, v1
	s_abs_i32 s45, s40
	s_abs_i32 s43, s33
	v_mul_f32_e32 v2, 0x4f7ffffe, v2
	v_mul_f32_e32 v1, 0x4f7ffffe, v1
	v_cvt_u32_f32_e32 v2, v2
	v_cvt_u32_f32_e32 v1, v1
	v_readfirstlane_b32 s16, v2
	v_readfirstlane_b32 s17, v1
	s_mul_i32 s6, s6, s16
	s_mul_i32 s4, s4, s17
	s_mul_hi_u32 s6, s16, s6
	s_add_i32 s16, s16, s6
	s_mul_hi_u32 s4, s17, s4
	s_waitcnt lgkmcnt(0)
	v_cmp_le_f32_e64 s[6:7], s13, 0
	s_add_i32 s17, s17, s4
	s_and_b64 vcc, exec, s[6:7]
	s_cbranch_vccnz .LBB14_2
; %bb.1:
	s_sub_i32 s4, s40, s5
	s_lshl_b32 s4, s4, 1
	s_add_i32 s6, s40, 1
	s_or_b32 s7, s4, 1
	s_cmp_lt_u32 s40, s5
	s_cselect_b64 vcc, -1, 0
	s_and_b64 s[4:5], vcc, exec
	v_mov_b32_e32 v1, s15
	v_mov_b32_e32 v2, s14
	s_cselect_b32 s4, s6, s7
	v_cndmask_b32_e32 v18, v1, v2, vcc
	v_cvt_f32_i32_e32 v1, s4
	v_cmp_neq_f32_e32 vcc, 1.0, v18
	s_mov_b32 s4, 0x3f2aaaab
	s_movk_i32 s6, 0x204
	v_cndmask_b32_e32 v19, 1.0, v1, vcc
	v_cmp_eq_f32_e32 vcc, 0, v19
	s_mov_b32 s8, 0x42b17218
	s_mov_b32 s7, 0x7f800000
	v_cndmask_b32_e64 v20, |v18|, 1.0, vcc
	v_frexp_mant_f32_e32 v1, v20
	v_cmp_gt_f32_e64 s[4:5], s4, v1
	s_brev_b32 s14, -2
	s_nop 0
	v_cndmask_b32_e64 v2, 1.0, 2.0, s[4:5]
	v_mul_f32_e32 v1, v1, v2
	v_add_f32_e32 v2, 1.0, v1
	v_rcp_f32_e32 v10, v2
	v_add_f32_e32 v3, -1.0, v2
	v_sub_f32_e32 v5, v1, v3
	v_add_f32_e32 v3, -1.0, v1
	v_mul_f32_e32 v1, v3, v10
	v_mul_f32_e32 v4, v2, v1
	v_fma_f32 v6, v1, v2, -v4
	v_fmac_f32_e32 v6, v1, v5
	v_add_f32_e32 v2, v4, v6
	v_sub_f32_e32 v5, v3, v2
	v_pk_add_f32 v[8:9], v[2:3], v[4:5] neg_lo:[0,1] neg_hi:[0,1]
	v_mov_b32_e32 v7, v2
	v_pk_add_f32 v[2:3], v[8:9], v[6:7] neg_lo:[0,1] neg_hi:[0,1]
	v_mov_b32_e32 v6, 0x3e91f4c4
	v_add_f32_e32 v2, v2, v3
	v_add_f32_e32 v2, v5, v2
	v_mul_f32_e32 v3, v10, v2
	v_add_f32_e32 v2, v1, v3
	v_sub_f32_e32 v1, v2, v1
	v_sub_f32_e32 v1, v3, v1
	v_mul_f32_e32 v3, v2, v2
	v_fma_f32 v5, v2, v2, -v3
	v_add_f32_e32 v4, v1, v1
	v_fmac_f32_e32 v5, v2, v4
	v_add_f32_e32 v4, v3, v5
	v_fmac_f32_e32 v6, 0x3e76c4e1, v4
	v_fmaak_f32 v6, v4, v6, 0x3ecccdef
	v_sub_f32_e32 v3, v4, v3
	v_sub_f32_e32 v12, v5, v3
	v_mul_f32_e32 v3, v4, v6
	v_fma_f32 v5, v4, v6, -v3
	v_fmac_f32_e32 v5, v12, v6
	v_add_f32_e32 v6, v3, v5
	v_add_f32_e32 v7, 0x3f2aaaaa, v6
	v_sub_f32_e32 v3, v6, v3
	v_sub_f32_e32 v3, v5, v3
	v_add_f32_e32 v5, 0xbf2aaaaa, v7
	v_add_f32_e32 v3, 0x31739010, v3
	v_sub_f32_e32 v5, v6, v5
	v_pk_mul_f32 v[8:9], v[2:3], v[4:5]
	v_pk_add_f32 v[10:11], v[2:3], v[4:5]
	v_fma_f32 v6, v4, v2, -v8
	v_fmac_f32_e32 v6, v4, v1
	v_mov_b32_e32 v9, v11
	v_fmac_f32_e32 v6, v12, v2
	v_pk_add_f32 v[4:5], v[8:9], v[6:7]
	v_ldexp_f32 v1, v1, 1
	v_sub_f32_e32 v3, v4, v8
	v_sub_f32_e32 v3, v6, v3
	;; [unrolled: 1-line block ×3, first 2 shown]
	v_add_f32_e32 v9, v11, v6
	v_mov_b32_e32 v6, v5
	v_pk_mul_f32 v[6:7], v[4:5], v[6:7]
	v_cvt_f64_f32_e32 v[10:11], v20
	v_frexp_exp_i32_f64_e32 v7, v[10:11]
	v_subbrev_co_u32_e64 v7, s[4:5], 0, v7, s[4:5]
	v_cvt_f32_i32_e32 v7, v7
	v_fma_f32 v8, v4, v5, -v6
	v_fmac_f32_e32 v8, v4, v9
	s_mov_b32 s4, 0x3f317218
	v_mul_f32_e32 v4, 0x3f317218, v7
	v_fmac_f32_e32 v8, v3, v5
	v_fma_f32 v3, v7, s4, -v4
	v_fmamk_f32 v10, v7, 0xb102e308, v3
	v_ldexp_f32 v11, v2, 1
	v_add_f32_e32 v5, v6, v8
	v_pk_add_f32 v[2:3], v[4:5], v[10:11]
	v_mov_b32_e32 v12, v5
	v_mov_b32_e32 v13, v3
	;; [unrolled: 1-line block ×3, first 2 shown]
	v_pk_add_f32 v[6:7], v[12:13], v[6:7] neg_lo:[0,1] neg_hi:[0,1]
	v_mov_b32_e32 v9, v5
	v_pk_add_f32 v[6:7], v[8:9], v[6:7] neg_lo:[0,1] neg_hi:[0,1]
	v_mov_b32_e32 v11, v2
	v_add_f32_e32 v1, v1, v6
	v_add_f32_e32 v5, v1, v7
	v_pk_add_f32 v[6:7], v[2:3], v[4:5] neg_lo:[0,1] neg_hi:[0,1]
	v_pk_add_f32 v[8:9], v[2:3], v[4:5]
	v_mov_b32_e32 v12, v6
	v_mov_b32_e32 v13, v9
	v_pk_add_f32 v[12:13], v[10:11], v[12:13]
	v_pk_add_f32 v[6:7], v[10:11], v[6:7] neg_lo:[0,1] neg_hi:[0,1]
	v_mov_b32_e32 v4, v13
	v_pk_add_f32 v[14:15], v[4:5], v[2:3] neg_lo:[0,1] neg_hi:[0,1]
	v_mov_b32_e32 v12, v9
	v_mov_b32_e32 v1, v14
	;; [unrolled: 1-line block ×4, first 2 shown]
	v_pk_add_f32 v[16:17], v[8:9], v[0:1] neg_lo:[0,1] neg_hi:[0,1]
	v_pk_add_f32 v[2:3], v[12:13], v[2:3] neg_lo:[0,1] neg_hi:[0,1]
	v_mov_b32_e32 v10, v5
	v_pk_add_f32 v[2:3], v[10:11], v[2:3] neg_lo:[0,1] neg_hi:[0,1]
	v_mov_b32_e32 v16, v6
	v_pk_add_f32 v[8:9], v[16:17], v[2:3]
	v_mov_b32_e32 v7, v13
	v_mov_b32_e32 v10, v9
	v_pk_add_f32 v[10:11], v[8:9], v[10:11]
	s_nop 0
	v_pk_add_f32 v[4:5], v[4:5], v[10:11]
	v_mov_b32_e32 v3, v10
	v_mov_b32_e32 v9, v4
	v_pk_add_f32 v[12:13], v[8:9], v[6:7] neg_lo:[0,1] neg_hi:[0,1]
	s_nop 0
	v_sub_f32_e32 v1, v8, v12
	v_pk_add_f32 v[2:3], v[2:3], v[12:13] neg_lo:[0,1] neg_hi:[0,1]
	v_sub_f32_e32 v1, v6, v1
	v_add_f32_e32 v1, v2, v1
	v_add_f32_e32 v1, v1, v3
	;; [unrolled: 1-line block ×3, first 2 shown]
	v_sub_f32_e32 v3, v2, v4
	v_sub_f32_e32 v1, v1, v3
	v_mul_f32_e32 v3, v19, v2
	v_fma_f32 v2, v19, v2, -v3
	v_fmac_f32_e32 v2, v19, v1
	v_add_f32_e32 v1, v3, v2
	v_cmp_class_f32_e64 s[4:5], v3, s6
	v_sub_f32_e32 v4, v1, v3
	v_sub_f32_e32 v2, v2, v4
	v_cndmask_b32_e64 v1, v1, v3, s[4:5]
	v_mov_b32_e32 v3, 0x37000000
	v_cmp_eq_f32_e64 s[4:5], s8, v1
	s_nop 1
	v_cndmask_b32_e64 v3, 0, v3, s[4:5]
	v_sub_f32_e32 v4, v1, v3
	s_mov_b32 s4, 0x3fb8aa3b
	v_mul_f32_e32 v5, 0x3fb8aa3b, v4
	v_fma_f32 v6, v4, s4, -v5
	v_rndne_f32_e32 v7, v5
	v_fmamk_f32 v6, v4, 0x32a5705f, v6
	v_sub_f32_e32 v5, v5, v7
	v_add_f32_e32 v5, v5, v6
	v_exp_f32_e32 v5, v5
	v_cvt_i32_f32_e32 v6, v7
	v_cmp_neq_f32_e64 s[4:5], |v1|, s7
	s_nop 1
	v_cndmask_b32_e64 v1, 0, v2, s[4:5]
	s_mov_b32 s4, 0xc2ce8ed0
	v_ldexp_f32 v2, v5, v6
	v_cmp_ngt_f32_e64 s[4:5], s4, v4
	v_add_f32_e32 v1, v3, v1
	v_mov_b32_e32 v3, 0x7f800000
	v_cndmask_b32_e64 v2, 0, v2, s[4:5]
	v_cmp_nlt_f32_e64 s[4:5], s8, v4
	v_trunc_f32_e32 v4, v19
	v_mov_b32_e32 v5, 0x7fc00000
	v_cndmask_b32_e64 v2, v3, v2, s[4:5]
	v_fma_f32 v1, v2, v1, v2
	v_cmp_class_f32_e64 s[4:5], v2, s6
	v_cmp_gt_f32_e64 s[8:9], 0, v19
	s_nop 0
	v_cndmask_b32_e64 v1, v1, v2, s[4:5]
	v_cndmask_b32_e64 v2, v18, 1.0, vcc
	v_cmp_eq_f32_e32 vcc, v4, v19
	v_mul_f32_e32 v4, 0.5, v19
	v_trunc_f32_e32 v6, v4
	v_cmp_neq_f32_e64 s[4:5], v6, v4
	s_and_b64 s[4:5], vcc, s[4:5]
	s_nop 0
	v_cndmask_b32_e64 v4, 1.0, v2, s[4:5]
	v_bfi_b32 v1, s14, v1, v4
	v_cndmask_b32_e32 v4, v5, v1, vcc
	v_cmp_gt_f32_e32 vcc, 0, v2
	s_nop 1
	v_cndmask_b32_e32 v1, v1, v4, vcc
	v_cmp_eq_f32_e32 vcc, s7, v20
	v_cmp_eq_f32_e64 s[6:7], 0, v2
	s_xor_b64 s[8:9], s[8:9], s[6:7]
	v_cndmask_b32_e64 v3, v3, 0, s[8:9]
	v_cndmask_b32_e64 v4, 0, v2, s[4:5]
	v_bfi_b32 v3, s14, v3, v4
	s_or_b64 vcc, vcc, s[6:7]
	v_cndmask_b32_e32 v1, v1, v3, vcc
	v_cmp_o_f32_e32 vcc, v2, v2
	s_nop 1
	v_cndmask_b32_e32 v58, v5, v1, vcc
.LBB14_2:
	s_mul_hi_u32 s9, s45, s16
	s_mul_hi_u32 s8, s43, s17
	s_load_dwordx16 s[16:31], s[0:1], 0x0
	v_bfe_u32 v53, v0, 10, 10
	v_and_b32_e32 v54, 0x3ff, v0
	v_cmp_eq_u32_e64 s[14:15], 0, v53
	v_lshlrev_b32_e32 v52, 4, v54
	v_mbcnt_lo_u32_b32 v55, -1, 0
	s_and_saveexec_b64 s[4:5], s[14:15]
	s_cbranch_execz .LBB14_7
; %bb.3:
	s_load_dwordx4 s[48:51], s[0:1], 0x70
	v_mbcnt_hi_u32_b32 v4, -1, v55
	v_and_b32_e32 v5, 0x60, v4
	v_xor_b32_e32 v6, 4, v4
	v_add_u32_e32 v9, 32, v5
	s_waitcnt lgkmcnt(0)
	s_mul_i32 s6, s33, s50
	s_mul_i32 s37, s2, s48
	;; [unrolled: 1-line block ×3, first 2 shown]
	s_add_i32 s6, s6, s37
	s_add_i32 s6, s6, s7
	s_ashr_i32 s7, s6, 31
	s_add_u32 s6, s16, s6
	s_addc_u32 s7, s17, s7
	global_load_dwordx4 v[0:3], v52, s[6:7]
	v_xor_b32_e32 v7, 2, v4
	v_cmp_lt_i32_e32 vcc, v6, v9
	v_xor_b32_e32 v8, 1, v4
	s_nop 0
	v_cndmask_b32_e32 v5, v4, v6, vcc
	v_cmp_lt_i32_e32 vcc, v7, v9
	s_nop 1
	v_cndmask_b32_e32 v6, v4, v7, vcc
	v_lshlrev_b32_e32 v10, 2, v6
	v_lshlrev_b32_e32 v7, 2, v5
	v_cmp_lt_i32_e32 vcc, v8, v9
	s_waitcnt vmcnt(0)
	v_mul_f32_e32 v6, s12, v0
	v_mov_b32_e32 v0, v3
	v_pk_mul_f32 v[0:1], v[0:1], s[12:13] op_sel_hi:[1,0]
	v_max_f32_e64 v3, |v6|, |v6|
	v_mul_f32_e32 v5, s12, v2
	v_max_f32_e64 v3, v3, |v1|
	v_max3_f32 v3, v3, |v5|, |v0|
	ds_bpermute_b32 v11, v7, v3
	v_add_f32_e32 v12, v1, v6
	v_fmac_f32_e32 v12, s12, v2
	v_add_f32_e32 v2, v0, v12
	ds_bpermute_b32 v7, v7, v2
	s_waitcnt lgkmcnt(1)
	v_max_f32_e32 v11, v11, v11
	v_max_f32_e32 v3, v3, v11
	ds_bpermute_b32 v11, v10, v3
	v_cndmask_b32_e32 v4, v4, v8, vcc
	s_waitcnt lgkmcnt(1)
	v_add_f32_e32 v2, v2, v7
	v_lshlrev_b32_e32 v4, 2, v4
	ds_bpermute_b32 v8, v10, v2
	s_waitcnt lgkmcnt(1)
	v_max_f32_e32 v7, v11, v11
	v_max_f32_e32 v9, v3, v7
	ds_bpermute_b32 v10, v4, v9
	s_mov_b32 s12, 0x42fe0000
	s_waitcnt lgkmcnt(1)
	v_add_f32_e32 v3, v2, v8
	ds_bpermute_b32 v4, v4, v3
	v_mov_b32_e32 v7, 0
	s_waitcnt lgkmcnt(1)
	v_max_f32_e32 v2, v10, v10
	v_max_f32_e32 v2, v9, v2
	v_div_scale_f32 v8, s[6:7], s12, s12, v2
	v_rcp_f32_e32 v9, v8
	v_div_scale_f32 v10, vcc, v2, s12, v2
	v_fma_f32 v11, -v8, v9, 1.0
	v_fmac_f32_e32 v9, v11, v9
	v_mul_f32_e32 v11, v10, v9
	v_fma_f32 v12, -v8, v11, v10
	v_fmac_f32_e32 v11, v12, v9
	v_fma_f32 v8, -v8, v11, v10
	v_div_fmas_f32 v8, v8, v9, v11
	v_div_fixup_f32 v2, v8, s12, v2
	v_cmp_neq_f32_e32 vcc, 0, v2
	s_and_saveexec_b64 s[6:7], vcc
	s_cbranch_execz .LBB14_5
; %bb.4:
	v_div_scale_f32 v7, s[12:13], v2, v2, v6
	v_rcp_f32_e32 v8, v7
	v_div_scale_f32 v9, vcc, v6, v2, v6
	s_brev_b32 s16, -2
	v_fma_f32 v10, -v7, v8, 1.0
	v_fmac_f32_e32 v8, v10, v8
	v_mul_f32_e32 v10, v9, v8
	v_fma_f32 v11, -v7, v10, v9
	v_fmac_f32_e32 v10, v11, v8
	v_fma_f32 v7, -v7, v10, v9
	v_div_fmas_f32 v7, v7, v8, v10
	v_div_fixup_f32 v6, v7, v2, v6
	v_trunc_f32_e32 v7, v6
	v_sub_f32_e32 v8, v6, v7
	v_cmp_ge_f32_e64 s[12:13], |v8|, 0.5
	s_nop 1
	v_cndmask_b32_e64 v8, 0, 1.0, s[12:13]
	v_div_scale_f32 v9, s[12:13], v2, v2, v0
	v_rcp_f32_e32 v10, v9
	v_bfi_b32 v6, s16, v8, v6
	v_add_f32_e32 v6, v7, v6
	v_cvt_i32_f32_e32 v6, v6
	v_fma_f32 v7, -v9, v10, 1.0
	v_fmac_f32_e32 v10, v7, v10
	v_div_scale_f32 v7, vcc, v0, v2, v0
	v_mul_f32_e32 v8, v7, v10
	v_fma_f32 v11, -v9, v8, v7
	v_fmac_f32_e32 v8, v11, v10
	v_div_scale_f32 v11, s[12:13], v2, v2, v1
	v_rcp_f32_e32 v12, v11
	v_fma_f32 v7, -v9, v8, v7
	v_div_fmas_f32 v7, v7, v10, v8
	v_div_fixup_f32 v0, v7, v2, v0
	v_fma_f32 v8, -v11, v12, 1.0
	v_fmac_f32_e32 v12, v8, v12
	v_div_scale_f32 v8, vcc, v1, v2, v1
	v_mul_f32_e32 v9, v8, v12
	v_fma_f32 v10, -v11, v9, v8
	v_fmac_f32_e32 v9, v10, v12
	v_div_scale_f32 v10, s[12:13], v2, v2, v5
	v_rcp_f32_e32 v13, v10
	v_fma_f32 v8, -v11, v9, v8
	v_div_fmas_f32 v8, v8, v12, v9
	v_div_fixup_f32 v1, v8, v2, v1
	v_fma_f32 v9, -v10, v13, 1.0
	v_fmac_f32_e32 v13, v9, v13
	v_div_scale_f32 v9, vcc, v5, v2, v5
	v_mul_f32_e32 v11, v9, v13
	v_fma_f32 v12, -v10, v11, v9
	v_fmac_f32_e32 v11, v12, v13
	v_fma_f32 v9, -v10, v11, v9
	v_div_fmas_f32 v9, v9, v13, v11
	v_div_fixup_f32 v5, v9, v2, v5
	v_trunc_f32_e32 v9, v5
	v_sub_f32_e32 v10, v5, v9
	v_trunc_f32_e32 v7, v1
	v_cmp_ge_f32_e64 s[12:13], |v10|, 0.5
	v_sub_f32_e32 v8, v1, v7
	s_nop 0
	v_cndmask_b32_e64 v10, 0, 1.0, s[12:13]
	v_cmp_ge_f32_e64 s[12:13], |v8|, 0.5
	v_bfi_b32 v5, s16, v10, v5
	v_add_f32_e32 v5, v9, v5
	v_cndmask_b32_e64 v8, 0, 1.0, s[12:13]
	v_bfi_b32 v1, s16, v8, v1
	v_add_f32_e32 v1, v7, v1
	v_trunc_f32_e32 v7, v0
	v_sub_f32_e32 v8, v0, v7
	v_cmp_ge_f32_e64 s[12:13], |v8|, 0.5
	v_cvt_i32_f32_e32 v5, v5
	v_cvt_i32_f32_e32 v1, v1
	v_cndmask_b32_e64 v8, 0, 1.0, s[12:13]
	v_bfi_b32 v0, s16, v8, v0
	v_add_f32_e32 v0, v7, v0
	v_cvt_i32_f32_e32 v0, v0
	v_and_b32_e32 v5, 0xff, v5
	v_lshlrev_b32_e32 v5, 16, v5
	v_mov_b32_e32 v7, 8
	v_lshlrev_b32_sdwa v1, v7, v1 dst_sel:DWORD dst_unused:UNUSED_PAD src0_sel:DWORD src1_sel:BYTE_0
	v_lshl_or_b32 v0, v0, 24, v5
	v_and_b32_e32 v5, 0xff, v6
	v_or3_b32 v7, v0, v1, v5
.LBB14_5:
	s_or_b64 exec, exec, s[6:7]
	v_and_b32_e32 v1, 7, v54
	v_lshlrev_b32_e32 v0, 2, v54
	v_cmp_eq_u32_e32 vcc, 0, v1
	ds_write_b32 v0, v7
	s_and_b64 exec, exec, vcc
	s_cbranch_execz .LBB14_7
; %bb.6:
	s_waitcnt lgkmcnt(1)
	v_add_f32_e32 v3, v3, v4
	ds_write_b64 v54, v[2:3] offset:128
.LBB14_7:
	s_or_b64 exec, exec, s[4:5]
	v_and_b32_e32 v16, 3, v54
	v_lshlrev_b32_e32 v14, 2, v16
	v_mov_b32_e32 v50, 0
	s_waitcnt lgkmcnt(0)
	s_barrier
	ds_read2_b32 v[8:9], v14 offset1:4
	ds_read2_b32 v[10:11], v14 offset0:8 offset1:12
	ds_read_b128 v[0:3], v50 offset:128
	ds_read_b128 v[4:7], v50 offset:144
	ds_read2_b32 v[12:13], v14 offset0:16 offset1:20
	ds_read2_b32 v[14:15], v14 offset0:24 offset1:28
	s_ashr_i32 s41, s40, 31
	s_ashr_i32 s4, s36, 31
	;; [unrolled: 1-line block ×3, first 2 shown]
	s_cmp_eq_u64 s[26:27], 0
	s_waitcnt lgkmcnt(0)
	s_barrier
	s_cbranch_scc1 .LBB14_9
; %bb.8:
	s_load_dword s5, s[0:1], 0xd0
	s_mov_b32 s7, 0
	s_waitcnt lgkmcnt(0)
	s_mul_i32 s5, s5, s33
	s_add_i32 s6, s5, s2
	s_lshl_b64 s[6:7], s[6:7], 2
	s_add_u32 s6, s26, s6
	s_addc_u32 s7, s27, s7
	s_load_dword s42, s[6:7], 0x0
.LBB14_9:
	v_lshlrev_b32_e32 v24, 5, v53
	v_add_u32_e32 v56, v24, v54
	s_lshl_b32 s16, s3, 7
	s_mov_b32 s27, 0
	s_waitcnt lgkmcnt(0)
	s_cmp_ge_i32 s16, s42
	v_mov_b32_e32 v75, 0xfeffffff
	v_mov_b32_e32 v68, 0
	v_lshlrev_b32_e32 v59, 2, v54
	v_lshlrev_b32_e32 v57, 1, v56
	v_mov_b32_e32 v69, 0
	v_mov_b32_e32 v70, 0
	;; [unrolled: 1-line block ×7, first 2 shown]
	s_cbranch_scc1 .LBB14_21
; %bb.10:
	s_load_dwordx4 s[36:39], s[0:1], 0x98
	s_load_dwordx2 s[58:59], s[0:1], 0x8c
	s_xor_b32 s4, s41, s4
	s_mul_i32 s8, s8, s10
	v_and_b32_e32 v17, 0x7c, v54
	s_waitcnt lgkmcnt(0)
	s_mul_i32 s6, s33, s37
	s_mul_i32 s7, s60, s36
	s_mul_hi_u32 s5, s33, s36
	s_add_i32 s62, s6, s7
	s_add_i32 s61, s62, s5
	s_mul_i32 s5, s9, s44
	s_sub_i32 s5, s45, s5
	s_add_i32 s6, s9, 1
	s_sub_i32 s7, s5, s44
	s_cmp_ge_u32 s5, s44
	s_cselect_b32 s6, s6, s9
	s_cselect_b32 s5, s7, s5
	s_add_i32 s7, s6, 1
	s_cmp_ge_u32 s5, s44
	s_cselect_b32 s5, s7, s6
	s_xor_b32 s5, s5, s4
	s_sub_i32 s4, s5, s4
	s_mul_i32 s12, s4, s59
	s_mul_i32 s54, s4, s39
	s_sub_i32 s4, s43, s8
	s_ashr_i32 s13, s12, 31
	s_ashr_i32 s55, s54, 31
	s_sub_i32 s5, s4, s10
	s_cmp_ge_u32 s4, s10
	s_cselect_b32 s4, s5, s4
	s_sub_i32 s5, s4, s10
	s_cmp_ge_u32 s4, s10
	s_cselect_b32 s6, s5, s4
	s_load_dwordx2 s[56:57], s[0:1], 0xa8
	s_load_dwordx2 s[4:5], s[0:1], 0xc8
	v_add_u32_e32 v18, v24, v17
	v_mbcnt_hi_u32_b32 v17, -1, v55
	v_and_b32_e32 v19, 0x7c, v17
	v_add_u32_e32 v19, 4, v19
	v_xor_b32_e32 v20, 2, v17
	s_xor_b32 s6, s6, s60
	v_cmp_lt_i32_e32 vcc, v20, v19
	s_sub_i32 s6, s6, s60
	s_load_dword s8, s[0:1], 0xd4
	v_cndmask_b32_e32 v20, v17, v20, vcc
	s_ashr_i32 s7, s6, 31
	s_waitcnt lgkmcnt(0)
	s_mul_i32 s5, s6, s5
	s_mul_hi_u32 s9, s6, s4
	v_lshlrev_b32_e32 v60, 2, v20
	v_xor_b32_e32 v20, 1, v17
	s_add_i32 s5, s9, s5
	s_mul_i32 s7, s7, s4
	s_mul_i32 s64, s2, s11
	v_cmp_lt_i32_e32 vcc, v20, v19
	s_add_i32 s39, s5, s7
	s_ashr_i32 s65, s64, 31
	v_cndmask_b32_e32 v19, v17, v20, vcc
	v_lshlrev_b32_e32 v61, 2, v19
	s_cmp_lg_u64 s[22:23], 0
	v_and_b32_e32 v19, 0x60, v17
	s_mul_i32 s43, s6, s4
	s_cselect_b64 s[46:47], -1, 0
	v_add_u32_e32 v19, 32, v19
	s_lshl_b32 s48, s8, 7
	v_cmp_eq_u32_e64 s[4:5], 3, v16
	v_cmp_eq_u32_e64 s[6:7], 0, v16
	;; [unrolled: 1-line block ×4, first 2 shown]
	v_xor_b32_e32 v16, 4, v17
	v_cmp_lt_i32_e32 vcc, v16, v19
	v_lshrrev_b32_e32 v25, 3, v54
	v_mul_lo_u32 v36, v18, s58
	v_cndmask_b32_e32 v16, v17, v16, vcc
	v_lshlrev_b32_e32 v62, 2, v16
	v_xor_b32_e32 v16, 8, v17
	v_cmp_lt_i32_e32 vcc, v16, v19
	v_add_u32_e32 v32, s58, v36
	v_and_b32_e32 v50, 12, v59
	v_cndmask_b32_e32 v16, v17, v16, vcc
	v_lshlrev_b32_e32 v63, 2, v16
	v_xor_b32_e32 v16, 16, v17
	v_cmp_lt_i32_e32 vcc, v16, v19
	v_mov_b32_e32 v51, 0
	v_add_u32_e32 v26, s58, v32
	v_cndmask_b32_e32 v16, v17, v16, vcc
	v_lshlrev_b32_e32 v64, 2, v16
	v_or_b32_e32 v16, v24, v25
	v_lshlrev_b32_e32 v65, 1, v16
	v_mov_b32_e32 v16, s36
	s_mul_i32 s44, s16, s58
	s_mul_i32 s50, s48, s58
	v_add_u32_e32 v20, s58, v26
	v_mad_u64_u32 v[34:35], s[58:59], s33, v16, v[50:51]
	s_mov_b32 s17, s27
	s_add_u32 s58, s18, s12
	v_add_u32_e32 v35, s62, v35
	s_addc_u32 s59, s19, s13
	s_lshl_b64 s[62:63], s[16:17], 1
	s_add_u32 s17, s43, s62
	s_mul_i32 s37, s33, s36
	s_addc_u32 s36, s39, s63
	s_add_u32 s22, s22, s64
	s_addc_u32 s23, s23, s65
	s_add_u32 s22, s22, s17
	s_mov_b32 s49, s27
	v_lshlrev_b32_e32 v50, 1, v18
	s_addc_u32 s23, s23, s36
	v_lshl_add_u64 v[18:19], s[22:23], 0, v[50:51]
	s_lshl_b64 s[22:23], s[48:49], 1
	v_and_b32_e32 v28, 7, v54
	s_add_u32 s62, s58, s37
	v_lshlrev_b32_e32 v50, 4, v28
	s_mul_i32 s17, s33, s57
	s_mul_i32 s60, s60, s56
	v_mov_b32_e32 v28, s56
	s_addc_u32 s63, s59, s61
	s_add_i32 s17, s17, s60
	v_mad_u64_u32 v[48:49], s[56:57], s33, v28, v[50:51]
	v_add_u32_e32 v50, v25, v24
	v_add_u32_e32 v49, s17, v49
	v_mul_lo_u32 v24, s38, v50
	v_lshl_add_u64 v[28:29], v[48:49], 0, s[54:55]
	v_ashrrev_i32_e32 v25, 31, v24
	v_lshl_add_u64 v[24:25], v[28:29], 0, v[24:25]
	v_lshl_add_u64 v[24:25], s[20:21], 0, v[24:25]
	s_add_u32 s20, s20, s54
	v_ashrrev_i32_e32 v33, 31, v32
	v_ashrrev_i32_e32 v27, 31, v26
	;; [unrolled: 1-line block ×3, first 2 shown]
	s_addc_u32 s21, s21, s55
	v_lshl_add_u64 v[16:17], v[34:35], 0, v[20:21]
	v_lshl_add_u64 v[22:23], v[34:35], 0, v[26:27]
	;; [unrolled: 1-line block ×4, first 2 shown]
	s_add_u32 s12, s37, s12
	v_add_u32_e32 v30, 4, v50
	s_addc_u32 s13, s61, s13
	v_add_u32_e32 v38, 8, v50
	v_add_u32_e32 v40, 28, v50
	;; [unrolled: 1-line block ×6, first 2 shown]
	v_mul_lo_u32 v30, s38, v30
	s_add_u32 s12, s18, s12
	v_mul_lo_u32 v38, s38, v38
	v_mul_lo_u32 v40, s38, v40
	v_mul_lo_u32 v42, s38, v42
	v_mul_lo_u32 v44, s38, v44
	v_mul_lo_u32 v46, s38, v46
	v_mul_lo_u32 v66, s38, v50
	v_ashrrev_i32_e32 v37, 31, v36
	v_ashrrev_i32_e32 v31, 31, v30
	s_addc_u32 s13, s19, s13
	v_ashrrev_i32_e32 v39, 31, v38
	v_ashrrev_i32_e32 v41, 31, v40
	;; [unrolled: 1-line block ×6, first 2 shown]
	v_lshl_add_u64 v[30:31], v[48:49], 0, v[30:31]
	v_lshl_add_u64 v[34:35], v[34:35], 0, v[36:37]
	;; [unrolled: 1-line block ×9, first 2 shown]
	s_mul_i32 s26, s16, s38
	s_mov_b32 s45, s27
	s_mov_b32 s51, s27
	s_mul_i32 s52, s48, s38
	s_mov_b32 s53, s27
	v_lshl_add_u64 v[16:17], s[58:59], 0, v[16:17]
	v_lshl_add_u64 v[18:19], v[18:19], 0, 6
	;; [unrolled: 1-line block ×16, first 2 shown]
	v_mov_b32_e32 v76, 0xfeffffff
	s_mov_b32 s17, 0x3fb8aa3b
	s_mov_b32 s18, 0xc2ce8ed0
	;; [unrolled: 1-line block ×3, first 2 shown]
	v_mov_b32_e32 v66, 0x7f800000
	v_mov_b32_e32 v74, v51
	;; [unrolled: 1-line block ×9, first 2 shown]
                                        ; implicit-def: $vgpr67
.LBB14_11:                              ; =>This Inner Loop Header: Depth=1
	v_lshl_add_u64 v[78:79], v[34:35], 0, s[44:45]
	global_load_dword v75, v[78:79], off offset:2
	global_load_dword v77, v[78:79], off offset:20
	;; [unrolled: 1-line block ×4, first 2 shown]
	v_lshl_add_u64 v[78:79], v[36:37], 0, s[44:45]
	global_load_ushort v82, v[78:79], off offset:-54
	global_load_ushort v83, v[78:79], off offset:-36
	;; [unrolled: 1-line block ×3, first 2 shown]
	global_load_ushort v85, v[78:79], off
	v_mov_b32_e32 v78, 0
	v_mov_b32_e32 v79, 0
	v_mov_b32_e32 v86, 0
	v_mov_b32_e32 v87, 0
	v_mov_b32_e32 v88, 0
	v_mov_b32_e32 v91, 0
	v_mov_b32_e32 v89, 0
	v_mov_b32_e32 v90, 0
	s_and_b64 vcc, exec, s[46:47]
	s_waitcnt vmcnt(7)
	v_and_b32_e32 v92, 0xf0f0f0f, v75
	v_lshrrev_b32_e32 v75, 4, v75
	v_dot4c_i32_i8_e32 v78, v92, v8
	v_and_b32_e32 v75, 0xf0f0f0f, v75
	s_waitcnt vmcnt(6)
	v_and_b32_e32 v93, 0xf0f0f0f, v77
	v_lshrrev_b32_e32 v77, 4, v77
	v_cvt_f32_i32_e32 v78, v78
	v_dot4c_i32_i8_e32 v79, v75, v9
	s_waitcnt vmcnt(4)
	v_and_b32_e32 v95, 0xf0f0f0f, v81
	v_lshrrev_b32_e32 v81, 4, v81
	v_dot4c_i32_i8_e32 v86, v93, v10
	v_and_b32_e32 v77, 0xf0f0f0f, v77
	v_cvt_f32_i32_e32 v79, v79
	v_and_b32_e32 v94, 0xf0f0f0f, v80
	v_lshrrev_b32_e32 v80, 4, v80
	v_and_b32_e32 v81, 0xf0f0f0f, v81
	v_cvt_f32_i32_e32 v75, v86
	v_dot4c_i32_i8_e32 v87, v77, v11
	v_dot4c_i32_i8_e32 v88, v94, v12
	v_and_b32_e32 v80, 0xf0f0f0f, v80
	v_dot4c_i32_i8_e32 v91, v81, v15
	v_cvt_f32_i32_e32 v81, v87
	v_cvt_f32_i32_e32 v77, v88
	v_dot4c_i32_i8_e32 v89, v80, v13
	v_fma_f32 v78, v0, v78, -v1
	v_dot4c_i32_i8_e32 v90, v95, v14
	s_waitcnt vmcnt(3)
	v_fma_mix_f32 v78, v78, v82, 0 op_sel_hi:[0,1,0]
	v_cvt_f32_i32_e32 v86, v89
	v_fma_f32 v79, v0, v79, -v1
	v_cvt_f32_i32_e32 v80, v90
	v_fma_f32 v75, v2, v75, -v3
	v_fma_mix_f32 v78, v79, v82, v78 op_sel_hi:[0,1,0]
	v_cvt_f32_i32_e32 v87, v91
	v_fma_f32 v81, v2, v81, -v3
	s_waitcnt vmcnt(2)
	v_fma_mix_f32 v75, v75, v83, v78 op_sel_hi:[0,1,0]
	v_fma_f32 v77, v4, v77, -v5
	v_fma_mix_f32 v75, v81, v83, v75 op_sel_hi:[0,1,0]
	v_fma_f32 v86, v4, v86, -v5
	s_waitcnt vmcnt(1)
	v_fma_mix_f32 v75, v77, v84, v75 op_sel_hi:[0,1,0]
	v_fma_f32 v80, v6, v80, -v7
	v_fma_mix_f32 v75, v86, v84, v75 op_sel_hi:[0,1,0]
	v_fma_f32 v87, v6, v87, -v7
	s_waitcnt vmcnt(0)
	v_fma_mix_f32 v75, v80, v85, v75 op_sel_hi:[0,1,0]
	v_fma_mix_f32 v75, v87, v85, v75 op_sel_hi:[0,1,0]
	ds_bpermute_b32 v77, v60, v75
	s_waitcnt lgkmcnt(0)
	v_add_f32_e32 v75, v75, v77
	ds_bpermute_b32 v77, v61, v75
	s_waitcnt lgkmcnt(0)
	v_add_f32_e32 v75, v75, v77
	s_cbranch_vccz .LBB14_13
; %bb.12:                               ;   in Loop: Header=BB14_11 Depth=1
	global_load_ushort v77, v[18:19], off offset:-6
	s_waitcnt vmcnt(0)
	v_fma_mix_f32 v75, v58, v77, v75 op_sel_hi:[0,1,0]
.LBB14_13:                              ;   in Loop: Header=BB14_11 Depth=1
	v_lshl_add_u64 v[78:79], v[28:29], 0, s[44:45]
	global_load_dword v77, v[78:79], off offset:2
	global_load_dword v80, v[78:79], off offset:20
	;; [unrolled: 1-line block ×4, first 2 shown]
	v_lshl_add_u64 v[78:79], v[32:33], 0, s[44:45]
	global_load_ushort v83, v[78:79], off
	global_load_ushort v84, v[78:79], off offset:18
	global_load_ushort v85, v[78:79], off offset:36
	;; [unrolled: 1-line block ×3, first 2 shown]
	v_mov_b32_e32 v78, 0
	v_mov_b32_e32 v79, 0
	;; [unrolled: 1-line block ×8, first 2 shown]
	s_andn2_b64 vcc, exec, s[46:47]
	s_waitcnt vmcnt(7)
	v_and_b32_e32 v93, 0xf0f0f0f, v77
	v_lshrrev_b32_e32 v77, 4, v77
	v_dot4c_i32_i8_e32 v78, v93, v8
	v_and_b32_e32 v77, 0xf0f0f0f, v77
	s_waitcnt vmcnt(6)
	v_and_b32_e32 v94, 0xf0f0f0f, v80
	v_lshrrev_b32_e32 v80, 4, v80
	v_cvt_f32_i32_e32 v78, v78
	v_dot4c_i32_i8_e32 v79, v77, v9
	s_waitcnt vmcnt(4)
	v_and_b32_e32 v96, 0xf0f0f0f, v82
	v_lshrrev_b32_e32 v82, 4, v82
	v_dot4c_i32_i8_e32 v87, v94, v10
	v_and_b32_e32 v80, 0xf0f0f0f, v80
	v_cvt_f32_i32_e32 v79, v79
	v_and_b32_e32 v95, 0xf0f0f0f, v81
	v_lshrrev_b32_e32 v81, 4, v81
	v_and_b32_e32 v82, 0xf0f0f0f, v82
	v_cvt_f32_i32_e32 v77, v87
	v_dot4c_i32_i8_e32 v88, v80, v11
	v_dot4c_i32_i8_e32 v89, v95, v12
	v_and_b32_e32 v81, 0xf0f0f0f, v81
	v_dot4c_i32_i8_e32 v92, v82, v15
	v_cvt_f32_i32_e32 v82, v88
	v_cvt_f32_i32_e32 v80, v89
	v_dot4c_i32_i8_e32 v90, v81, v13
	v_fma_f32 v78, v0, v78, -v1
	v_dot4c_i32_i8_e32 v91, v96, v14
	s_waitcnt vmcnt(3)
	v_fma_mix_f32 v78, v78, v83, 0 op_sel_hi:[0,1,0]
	v_cvt_f32_i32_e32 v87, v90
	v_fma_f32 v79, v0, v79, -v1
	v_cvt_f32_i32_e32 v81, v91
	v_fma_f32 v77, v2, v77, -v3
	v_fma_mix_f32 v78, v79, v83, v78 op_sel_hi:[0,1,0]
	v_cvt_f32_i32_e32 v88, v92
	v_fma_f32 v82, v2, v82, -v3
	s_waitcnt vmcnt(2)
	v_fma_mix_f32 v77, v77, v84, v78 op_sel_hi:[0,1,0]
	v_fma_f32 v80, v4, v80, -v5
	v_fma_mix_f32 v77, v82, v84, v77 op_sel_hi:[0,1,0]
	v_fma_f32 v87, v4, v87, -v5
	s_waitcnt vmcnt(1)
	v_fma_mix_f32 v77, v80, v85, v77 op_sel_hi:[0,1,0]
	v_fma_f32 v81, v6, v81, -v7
	v_fma_mix_f32 v77, v87, v85, v77 op_sel_hi:[0,1,0]
	s_waitcnt vmcnt(0)
	v_fma_mix_f32 v77, v81, v86, v77 op_sel_hi:[0,1,0]
	v_fma_f32 v78, v6, v88, -v7
	v_fma_mix_f32 v77, v78, v86, v77 op_sel_hi:[0,1,0]
	ds_bpermute_b32 v78, v60, v77
	v_cndmask_b32_e64 v79, 0, 1, s[46:47]
	v_cmp_ne_u32_e64 s[12:13], 1, v79
	s_waitcnt lgkmcnt(0)
	v_add_f32_e32 v77, v77, v78
	ds_bpermute_b32 v78, v61, v77
	s_waitcnt lgkmcnt(0)
	v_add_f32_e32 v77, v77, v78
	s_cbranch_vccnz .LBB14_15
; %bb.14:                               ;   in Loop: Header=BB14_11 Depth=1
	global_load_ushort v78, v[18:19], off offset:-4
	s_waitcnt vmcnt(0)
	v_fma_mix_f32 v77, v58, v78, v77 op_sel_hi:[0,1,0]
.LBB14_15:                              ;   in Loop: Header=BB14_11 Depth=1
	v_lshl_add_u64 v[78:79], v[22:23], 0, s[44:45]
	global_load_dword v80, v[78:79], off offset:2
	global_load_dword v81, v[78:79], off offset:20
	;; [unrolled: 1-line block ×4, first 2 shown]
	v_lshl_add_u64 v[78:79], v[26:27], 0, s[44:45]
	global_load_ushort v84, v[78:79], off
	global_load_ushort v85, v[78:79], off offset:18
	global_load_ushort v86, v[78:79], off offset:36
	global_load_ushort v87, v[78:79], off offset:54
	v_mov_b32_e32 v78, 0
	v_mov_b32_e32 v79, 0
	;; [unrolled: 1-line block ×8, first 2 shown]
	s_and_b64 vcc, exec, s[12:13]
	s_waitcnt vmcnt(7)
	v_and_b32_e32 v94, 0xf0f0f0f, v80
	v_lshrrev_b32_e32 v80, 4, v80
	v_dot4c_i32_i8_e32 v78, v94, v8
	v_and_b32_e32 v80, 0xf0f0f0f, v80
	s_waitcnt vmcnt(6)
	v_and_b32_e32 v95, 0xf0f0f0f, v81
	v_lshrrev_b32_e32 v81, 4, v81
	v_cvt_f32_i32_e32 v78, v78
	v_dot4c_i32_i8_e32 v79, v80, v9
	s_waitcnt vmcnt(4)
	v_and_b32_e32 v97, 0xf0f0f0f, v83
	v_lshrrev_b32_e32 v83, 4, v83
	v_dot4c_i32_i8_e32 v88, v95, v10
	v_and_b32_e32 v81, 0xf0f0f0f, v81
	v_cvt_f32_i32_e32 v79, v79
	v_and_b32_e32 v96, 0xf0f0f0f, v82
	v_lshrrev_b32_e32 v82, 4, v82
	v_and_b32_e32 v83, 0xf0f0f0f, v83
	v_cvt_f32_i32_e32 v80, v88
	v_dot4c_i32_i8_e32 v89, v81, v11
	v_dot4c_i32_i8_e32 v90, v96, v12
	v_and_b32_e32 v82, 0xf0f0f0f, v82
	v_dot4c_i32_i8_e32 v93, v83, v15
	v_cvt_f32_i32_e32 v83, v89
	v_cvt_f32_i32_e32 v81, v90
	v_dot4c_i32_i8_e32 v91, v82, v13
	v_fma_f32 v78, v0, v78, -v1
	v_dot4c_i32_i8_e32 v92, v97, v14
	s_waitcnt vmcnt(3)
	v_fma_mix_f32 v78, v78, v84, 0 op_sel_hi:[0,1,0]
	v_cvt_f32_i32_e32 v88, v91
	v_fma_f32 v79, v0, v79, -v1
	v_cvt_f32_i32_e32 v82, v92
	v_fma_f32 v80, v2, v80, -v3
	v_fma_mix_f32 v78, v79, v84, v78 op_sel_hi:[0,1,0]
	v_cvt_f32_i32_e32 v89, v93
	v_fma_f32 v83, v2, v83, -v3
	s_waitcnt vmcnt(2)
	v_fma_mix_f32 v78, v80, v85, v78 op_sel_hi:[0,1,0]
	v_fma_f32 v81, v4, v81, -v5
	v_fma_mix_f32 v78, v83, v85, v78 op_sel_hi:[0,1,0]
	v_fma_f32 v88, v4, v88, -v5
	s_waitcnt vmcnt(1)
	v_fma_mix_f32 v78, v81, v86, v78 op_sel_hi:[0,1,0]
	v_fma_f32 v82, v6, v82, -v7
	v_fma_mix_f32 v78, v88, v86, v78 op_sel_hi:[0,1,0]
	s_waitcnt vmcnt(0)
	v_fma_mix_f32 v78, v82, v87, v78 op_sel_hi:[0,1,0]
	v_fma_f32 v79, v6, v89, -v7
	v_fma_mix_f32 v78, v79, v87, v78 op_sel_hi:[0,1,0]
	ds_bpermute_b32 v79, v60, v78
	s_waitcnt lgkmcnt(0)
	v_add_f32_e32 v78, v78, v79
	ds_bpermute_b32 v79, v61, v78
	s_waitcnt lgkmcnt(0)
	v_add_f32_e32 v78, v78, v79
	s_cbranch_vccnz .LBB14_17
; %bb.16:                               ;   in Loop: Header=BB14_11 Depth=1
	global_load_ushort v79, v[18:19], off offset:-2
	s_waitcnt vmcnt(0)
	v_fma_mix_f32 v78, v58, v79, v78 op_sel_hi:[0,1,0]
.LBB14_17:                              ;   in Loop: Header=BB14_11 Depth=1
	v_lshl_add_u64 v[80:81], v[16:17], 0, s[44:45]
	global_load_dword v79, v[80:81], off offset:2
	global_load_dword v82, v[80:81], off offset:20
	;; [unrolled: 1-line block ×4, first 2 shown]
	v_lshl_add_u64 v[80:81], v[20:21], 0, s[44:45]
	global_load_ushort v85, v[80:81], off
	global_load_ushort v86, v[80:81], off offset:18
	global_load_ushort v87, v[80:81], off offset:36
	global_load_ushort v88, v[80:81], off offset:54
	v_mov_b32_e32 v80, 0
	v_mov_b32_e32 v81, 0
	;; [unrolled: 1-line block ×8, first 2 shown]
	s_and_b64 vcc, exec, s[12:13]
	s_waitcnt vmcnt(7)
	v_and_b32_e32 v95, 0xf0f0f0f, v79
	v_lshrrev_b32_e32 v79, 4, v79
	v_dot4c_i32_i8_e32 v80, v95, v8
	v_and_b32_e32 v79, 0xf0f0f0f, v79
	s_waitcnt vmcnt(6)
	v_and_b32_e32 v96, 0xf0f0f0f, v82
	v_lshrrev_b32_e32 v82, 4, v82
	v_cvt_f32_i32_e32 v80, v80
	v_dot4c_i32_i8_e32 v81, v79, v9
	s_waitcnt vmcnt(4)
	v_and_b32_e32 v98, 0xf0f0f0f, v84
	v_lshrrev_b32_e32 v84, 4, v84
	v_dot4c_i32_i8_e32 v89, v96, v10
	v_and_b32_e32 v82, 0xf0f0f0f, v82
	v_cvt_f32_i32_e32 v81, v81
	v_and_b32_e32 v97, 0xf0f0f0f, v83
	v_lshrrev_b32_e32 v83, 4, v83
	v_and_b32_e32 v84, 0xf0f0f0f, v84
	v_cvt_f32_i32_e32 v79, v89
	v_dot4c_i32_i8_e32 v90, v82, v11
	v_dot4c_i32_i8_e32 v91, v97, v12
	v_and_b32_e32 v83, 0xf0f0f0f, v83
	v_dot4c_i32_i8_e32 v94, v84, v15
	v_cvt_f32_i32_e32 v84, v90
	v_cvt_f32_i32_e32 v82, v91
	v_dot4c_i32_i8_e32 v92, v83, v13
	v_fma_f32 v80, v0, v80, -v1
	v_dot4c_i32_i8_e32 v93, v98, v14
	s_waitcnt vmcnt(3)
	v_fma_mix_f32 v80, v80, v85, 0 op_sel_hi:[0,1,0]
	v_cvt_f32_i32_e32 v89, v92
	v_fma_f32 v81, v0, v81, -v1
	v_cvt_f32_i32_e32 v83, v93
	v_fma_f32 v79, v2, v79, -v3
	v_fma_mix_f32 v80, v81, v85, v80 op_sel_hi:[0,1,0]
	v_cvt_f32_i32_e32 v90, v94
	v_fma_f32 v84, v2, v84, -v3
	s_waitcnt vmcnt(2)
	v_fma_mix_f32 v79, v79, v86, v80 op_sel_hi:[0,1,0]
	v_fma_f32 v82, v4, v82, -v5
	v_fma_mix_f32 v79, v84, v86, v79 op_sel_hi:[0,1,0]
	v_fma_f32 v89, v4, v89, -v5
	s_waitcnt vmcnt(1)
	v_fma_mix_f32 v79, v82, v87, v79 op_sel_hi:[0,1,0]
	v_fma_f32 v83, v6, v83, -v7
	v_fma_mix_f32 v79, v89, v87, v79 op_sel_hi:[0,1,0]
	s_waitcnt vmcnt(0)
	v_fma_mix_f32 v79, v83, v88, v79 op_sel_hi:[0,1,0]
	v_fma_f32 v80, v6, v90, -v7
	v_fma_mix_f32 v79, v80, v88, v79 op_sel_hi:[0,1,0]
	ds_bpermute_b32 v80, v60, v79
	s_waitcnt lgkmcnt(0)
	v_add_f32_e32 v79, v79, v80
	ds_bpermute_b32 v80, v61, v79
	s_waitcnt lgkmcnt(0)
	v_add_f32_e32 v79, v79, v80
	s_cbranch_vccnz .LBB14_19
; %bb.18:                               ;   in Loop: Header=BB14_11 Depth=1
	global_load_ushort v80, v[18:19], off
	s_waitcnt vmcnt(0)
	v_fma_mix_f32 v79, v58, v80, v79 op_sel_hi:[0,1,0]
.LBB14_19:                              ;   in Loop: Header=BB14_11 Depth=1
	v_add_f32_e32 v86, 0x40051340, v75
	v_add_f32_e32 v87, 0x40051340, v77
	;; [unrolled: 1-line block ×4, first 2 shown]
	v_max3_f32 v86, v76, v86, v87
	v_max3_f32 v86, v86, v88, v89
	ds_bpermute_b32 v87, v62, v86
	v_lshl_add_u64 v[80:81], v[24:25], 0, s[26:27]
	global_load_dwordx4 v[82:85], v[80:81], off
	v_cndmask_b32_e64 v67, v67, v75, s[6:7]
	v_cndmask_b32_e64 v67, v67, v77, s[8:9]
	s_waitcnt lgkmcnt(0)
	v_max_f32_e32 v87, v87, v87
	v_max_f32_e32 v90, v86, v87
	global_load_dwordx4 v[86:89], v[80:81], off offset:128
	ds_bpermute_b32 v91, v63, v90
	v_cndmask_b32_e64 v67, v67, v78, s[10:11]
	v_cndmask_b32_e64 v67, v67, v79, s[4:5]
	v_lshl_add_u64 v[80:81], v[30:31], 0, s[26:27]
	s_add_i32 s16, s16, s48
	s_waitcnt lgkmcnt(0)
	v_max_f32_e32 v75, v91, v91
	v_max_f32_e32 v75, v90, v75
	ds_bpermute_b32 v90, v64, v75
	v_lshl_add_u64 v[16:17], v[16:17], 0, s[50:51]
	v_lshl_add_u64 v[18:19], v[18:19], 0, s[22:23]
	;; [unrolled: 1-line block ×4, first 2 shown]
	s_waitcnt lgkmcnt(0)
	v_max_f32_e32 v77, v90, v90
	v_max_f32_e32 v75, v75, v77
	v_sub_f32_e32 v67, v67, v75
	v_sub_f32_e32 v76, v76, v75
	v_mul_f32_e32 v78, 0x3fb8aa3b, v67
	v_mul_f32_e32 v77, 0x3fb8aa3b, v76
	v_fma_f32 v91, v67, s17, -v78
	v_rndne_f32_e32 v92, v78
	v_rndne_f32_e32 v90, v77
	v_fmac_f32_e32 v91, 0x32a5705f, v67
	v_sub_f32_e32 v78, v78, v92
	v_fma_f32 v79, v76, s17, -v77
	v_sub_f32_e32 v77, v77, v90
	v_cvt_i32_f32_e32 v98, v90
	v_cvt_i32_f32_e32 v99, v92
	v_add_f32_e32 v78, v78, v91
	global_load_dwordx4 v[90:93], v[80:81], off
	global_load_dwordx4 v[94:97], v[80:81], off offset:128
	v_fmac_f32_e32 v79, 0x32a5705f, v76
	v_add_f32_e32 v77, v77, v79
	v_exp_f32_e32 v77, v77
	v_exp_f32_e32 v78, v78
	v_cmp_ngt_f32_e32 vcc, s18, v76
	v_lshl_add_u64 v[24:25], v[24:25], 0, s[52:53]
	v_ldexp_f32 v77, v77, v98
	v_ldexp_f32 v78, v78, v99
	v_cndmask_b32_e32 v77, 0, v77, vcc
	v_cmp_ngt_f32_e32 vcc, s18, v67
	v_lshl_add_u64 v[26:27], v[26:27], 0, s[50:51]
	v_lshl_add_u64 v[28:29], v[28:29], 0, s[50:51]
	v_cndmask_b32_e32 v78, 0, v78, vcc
	v_cmp_nlt_f32_e32 vcc, s19, v67
	v_lshl_add_u64 v[30:31], v[30:31], 0, s[52:53]
	v_lshl_add_u64 v[32:33], v[32:33], 0, s[50:51]
	v_cndmask_b32_e32 v67, v66, v78, vcc
	v_cvt_f16_f32_e32 v78, v67
	v_cmp_nlt_f32_e32 vcc, s19, v76
	v_lshl_add_u64 v[34:35], v[34:35], 0, s[50:51]
	v_lshl_add_u64 v[36:37], v[36:37], 0, s[50:51]
	v_cndmask_b32_e32 v76, v66, v77, vcc
	v_cvt_f16_f32_e32 v81, v76
	ds_write_b16 v57, v78
	ds_read_u16 v98, v65
	ds_read_u16 v99, v65 offset:8
	ds_read_u16 v100, v65 offset:16
	;; [unrolled: 1-line block ×7, first 2 shown]
	v_fma_f32 v50, v50, v76, v67
	s_cmp_ge_i32 s16, s42
	s_waitcnt vmcnt(3)
	v_lshlrev_b32_e32 v104, 16, v84
	v_and_b32_e32 v84, 0xffff0000, v84
	v_lshlrev_b32_e32 v105, 16, v85
	v_and_b32_e32 v85, 0xffff0000, v85
	v_cvt_f16_f32_e32 v84, v84
	v_cvt_f16_f32_e32 v104, v104
	v_cvt_f16_f32_e32 v85, v85
	v_cvt_f16_f32_e32 v105, v105
	s_waitcnt vmcnt(2)
	v_lshlrev_b32_e32 v106, 16, v88
	v_pack_b32_f16 v84, v104, v84
	v_lshlrev_b32_e32 v104, 16, v86
	v_and_b32_e32 v86, 0xffff0000, v86
	v_pack_b32_f16 v85, v105, v85
	v_cvt_f16_f32_e32 v86, v86
	v_cvt_f16_f32_e32 v104, v104
	v_lshlrev_b32_e32 v105, 16, v87
	v_and_b32_e32 v87, 0xffff0000, v87
	v_cvt_f16_f32_e32 v87, v87
	v_cvt_f16_f32_e32 v105, v105
	v_and_b32_e32 v88, 0xffff0000, v88
	v_cvt_f16_f32_e32 v88, v88
	v_cvt_f16_f32_e32 v106, v106
	v_lshlrev_b32_e32 v102, 16, v82
	v_and_b32_e32 v82, 0xffff0000, v82
	v_lshlrev_b32_e32 v103, 16, v83
	v_and_b32_e32 v83, 0xffff0000, v83
	v_pack_b32_f16 v86, v104, v86
	v_cvt_f16_f32_e32 v82, v82
	v_cvt_f16_f32_e32 v102, v102
	;; [unrolled: 1-line block ×4, first 2 shown]
	v_pack_b32_f16 v87, v105, v87
	s_waitcnt lgkmcnt(7)
	v_pk_mul_f16 v86, v98, v86 op_sel_hi:[0,1]
	v_pack_b32_f16 v88, v106, v88
	v_pk_fma_f16 v104, v81, v71, v86 op_sel_hi:[0,1,1]
	v_pk_mul_f16 v71, v98, v87 op_sel_hi:[0,1]
	v_lshlrev_b32_e32 v107, 16, v89
	v_and_b32_e32 v89, 0xffff0000, v89
	v_pk_fma_f16 v105, v81, v70, v71 op_sel_hi:[0,1,1]
	v_pk_mul_f16 v70, v98, v88 op_sel_hi:[0,1]
	v_pk_mul_f16 v84, v98, v84 op_sel_hi:[0,1]
	v_cvt_f16_f32_e32 v89, v89
	v_cvt_f16_f32_e32 v107, v107
	v_pk_fma_f16 v106, v81, v69, v70 op_sel_hi:[0,1,1]
	s_waitcnt vmcnt(1)
	v_lshlrev_b32_e32 v69, 16, v90
	v_and_b32_e32 v86, 0xffff0000, v90
	v_lshlrev_b32_e32 v87, 16, v91
	v_and_b32_e32 v88, 0xffff0000, v91
	v_pack_b32_f16 v82, v102, v82
	v_pack_b32_f16 v83, v103, v83
	v_pk_fma_f16 v102, v81, v73, v84 op_sel_hi:[0,1,1]
	v_pk_mul_f16 v73, v98, v85 op_sel_hi:[0,1]
	v_cvt_f16_f32_e32 v86, v86
	v_cvt_f16_f32_e32 v69, v69
	;; [unrolled: 1-line block ×4, first 2 shown]
	v_pk_mul_f16 v82, v98, v82 op_sel_hi:[0,1]
	v_pk_mul_f16 v83, v98, v83 op_sel_hi:[0,1]
	v_pk_fma_f16 v103, v81, v72, v73 op_sel_hi:[0,1,1]
	v_lshl_add_u64 v[72:73], v[38:39], 0, s[26:27]
	v_pk_fma_f16 v51, v81, v51, v82 op_sel_hi:[0,1,1]
	v_pk_fma_f16 v74, v81, v74, v83 op_sel_hi:[0,1,1]
	global_load_dwordx4 v[82:85], v[72:73], off
	v_pack_b32_f16 v89, v107, v89
	v_pk_mul_f16 v89, v98, v89 op_sel_hi:[0,1]
	v_pack_b32_f16 v90, v69, v86
	v_pack_b32_f16 v91, v87, v88
	v_lshlrev_b32_e32 v86, 16, v93
	v_and_b32_e32 v87, 0xffff0000, v93
	v_pk_fma_f16 v81, v81, v68, v89 op_sel_hi:[0,1,1]
	v_lshlrev_b32_e32 v68, 16, v92
	v_and_b32_e32 v69, 0xffff0000, v92
	v_cvt_f16_f32_e32 v92, v87
	v_cvt_f16_f32_e32 v93, v86
	global_load_dwordx4 v[70:73], v[72:73], off offset:128
	v_cvt_f16_f32_e32 v69, v69
	v_cvt_f16_f32_e32 v68, v68
	v_pack_b32_f16 v92, v93, v92
	s_waitcnt lgkmcnt(6)
	v_pk_fma_f16 v51, v99, v90, v51 op_sel_hi:[0,1,1]
	s_waitcnt vmcnt(2)
	v_lshlrev_b32_e32 v90, 16, v94
	v_and_b32_e32 v93, 0xffff0000, v94
	v_cvt_f16_f32_e32 v93, v93
	v_cvt_f16_f32_e32 v90, v90
	v_pack_b32_f16 v98, v68, v69
	v_lshl_add_u64 v[68:69], v[42:43], 0, s[26:27]
	global_load_dwordx4 v[86:89], v[68:69], off
	v_pk_fma_f16 v74, v99, v91, v74 op_sel_hi:[0,1,1]
	v_pk_fma_f16 v94, v99, v98, v102 op_sel_hi:[0,1,1]
	;; [unrolled: 1-line block ×3, first 2 shown]
	v_pack_b32_f16 v102, v90, v93
	v_lshlrev_b32_e32 v90, 16, v95
	v_and_b32_e32 v91, 0xffff0000, v95
	v_lshlrev_b32_e32 v92, 16, v96
	v_and_b32_e32 v93, 0xffff0000, v96
	v_cvt_f16_f32_e32 v91, v91
	v_cvt_f16_f32_e32 v90, v90
	;; [unrolled: 1-line block ×4, first 2 shown]
	v_lshlrev_b32_e32 v95, 16, v97
	v_and_b32_e32 v96, 0xffff0000, v97
	v_pack_b32_f16 v97, v90, v91
	v_pack_b32_f16 v103, v92, v93
	global_load_dwordx4 v[90:93], v[68:69], off offset:128
	v_cvt_f16_f32_e32 v96, v96
	v_cvt_f16_f32_e32 v95, v95
	v_lshl_add_u64 v[38:39], v[38:39], 0, s[52:53]
	v_lshl_add_u64 v[42:43], v[42:43], 0, s[52:53]
	v_pack_b32_f16 v68, v95, v96
	v_pk_fma_f16 v95, v99, v102, v104 op_sel_hi:[0,1,1]
	v_pk_fma_f16 v96, v99, v97, v105 op_sel_hi:[0,1,1]
	;; [unrolled: 1-line block ×4, first 2 shown]
	s_waitcnt vmcnt(3)
	v_lshlrev_b32_e32 v99, 16, v84
	v_and_b32_e32 v84, 0xffff0000, v84
	v_cvt_f16_f32_e32 v84, v84
	v_cvt_f16_f32_e32 v99, v99
	v_lshlrev_b32_e32 v68, 16, v82
	v_and_b32_e32 v69, 0xffff0000, v82
	v_lshlrev_b32_e32 v82, 16, v83
	v_and_b32_e32 v83, 0xffff0000, v83
	v_cvt_f16_f32_e32 v69, v69
	v_cvt_f16_f32_e32 v68, v68
	;; [unrolled: 1-line block ×4, first 2 shown]
	v_lshlrev_b32_e32 v102, 16, v85
	v_and_b32_e32 v85, 0xffff0000, v85
	v_cvt_f16_f32_e32 v85, v85
	v_cvt_f16_f32_e32 v102, v102
	v_pack_b32_f16 v99, v99, v84
	s_waitcnt lgkmcnt(5)
	v_pk_fma_f16 v94, v100, v99, v94 op_sel_hi:[0,1,1]
	s_waitcnt vmcnt(2)
	v_lshlrev_b32_e32 v99, 16, v70
	v_and_b32_e32 v70, 0xffff0000, v70
	v_cvt_f16_f32_e32 v70, v70
	v_cvt_f16_f32_e32 v99, v99
	v_pack_b32_f16 v68, v68, v69
	v_pack_b32_f16 v103, v82, v83
	;; [unrolled: 1-line block ×3, first 2 shown]
	v_pk_fma_f16 v51, v100, v68, v51 op_sel_hi:[0,1,1]
	v_lshl_add_u64 v[68:69], v[44:45], 0, s[26:27]
	v_pk_fma_f16 v74, v100, v103, v74 op_sel_hi:[0,1,1]
	v_lshlrev_b32_e32 v103, 16, v72
	v_and_b32_e32 v72, 0xffff0000, v72
	v_lshlrev_b32_e32 v104, 16, v73
	v_and_b32_e32 v73, 0xffff0000, v73
	global_load_dwordx4 v[82:85], v[68:69], off
	v_pk_fma_f16 v98, v100, v102, v98 op_sel_hi:[0,1,1]
	v_lshlrev_b32_e32 v102, 16, v71
	v_and_b32_e32 v71, 0xffff0000, v71
	v_cvt_f16_f32_e32 v72, v72
	v_cvt_f16_f32_e32 v103, v103
	;; [unrolled: 1-line block ×6, first 2 shown]
	v_pack_b32_f16 v70, v99, v70
	s_waitcnt vmcnt(2)
	v_lshlrev_b32_e32 v99, 16, v86
	v_and_b32_e32 v86, 0xffff0000, v86
	v_cvt_f16_f32_e32 v86, v86
	v_cvt_f16_f32_e32 v99, v99
	v_pack_b32_f16 v72, v103, v72
	v_pack_b32_f16 v73, v104, v73
	;; [unrolled: 1-line block ×3, first 2 shown]
	v_lshlrev_b32_e32 v102, 16, v87
	v_and_b32_e32 v87, 0xffff0000, v87
	v_pk_fma_f16 v97, v100, v72, v97 op_sel_hi:[0,1,1]
	v_pk_fma_f16 v81, v100, v73, v81 op_sel_hi:[0,1,1]
	v_lshlrev_b32_e32 v72, 16, v88
	v_and_b32_e32 v73, 0xffff0000, v88
	v_pk_fma_f16 v95, v100, v70, v95 op_sel_hi:[0,1,1]
	v_pk_fma_f16 v96, v100, v71, v96 op_sel_hi:[0,1,1]
	global_load_dwordx4 v[68:71], v[68:69], off offset:128
	v_cvt_f16_f32_e32 v87, v87
	v_cvt_f16_f32_e32 v102, v102
	v_pack_b32_f16 v99, v99, v86
	v_cvt_f16_f32_e32 v73, v73
	v_cvt_f16_f32_e32 v72, v72
	s_waitcnt lgkmcnt(4)
	v_pk_fma_f16 v51, v101, v99, v51 op_sel_hi:[0,1,1]
	s_waitcnt vmcnt(2)
	v_lshlrev_b32_e32 v99, 16, v90
	v_and_b32_e32 v90, 0xffff0000, v90
	v_cvt_f16_f32_e32 v90, v90
	v_cvt_f16_f32_e32 v99, v99
	v_pack_b32_f16 v100, v102, v87
	v_lshlrev_b32_e32 v86, 16, v89
	v_and_b32_e32 v87, 0xffff0000, v89
	v_pack_b32_f16 v104, v72, v73
	v_lshl_add_u64 v[72:73], v[48:49], 0, s[26:27]
	v_cvt_f16_f32_e32 v102, v87
	v_cvt_f16_f32_e32 v103, v86
	global_load_dwordx4 v[86:89], v[72:73], off
	v_pk_fma_f16 v74, v101, v100, v74 op_sel_hi:[0,1,1]
	v_pack_b32_f16 v99, v99, v90
	v_lshlrev_b32_e32 v90, 16, v91
	v_and_b32_e32 v91, 0xffff0000, v91
	v_lshlrev_b32_e32 v100, 16, v92
	v_and_b32_e32 v92, 0xffff0000, v92
	v_cvt_f16_f32_e32 v91, v91
	v_cvt_f16_f32_e32 v90, v90
	v_cvt_f16_f32_e32 v92, v92
	v_cvt_f16_f32_e32 v100, v100
	v_pack_b32_f16 v102, v103, v102
	v_pk_fma_f16 v98, v101, v102, v98 op_sel_hi:[0,1,1]
	v_lshlrev_b32_e32 v102, 16, v93
	v_and_b32_e32 v93, 0xffff0000, v93
	v_pk_fma_f16 v94, v101, v104, v94 op_sel_hi:[0,1,1]
	v_cvt_f16_f32_e32 v103, v93
	v_pack_b32_f16 v104, v90, v91
	v_pack_b32_f16 v100, v100, v92
	global_load_dwordx4 v[90:93], v[72:73], off offset:128
	v_cvt_f16_f32_e32 v102, v102
	v_pk_fma_f16 v95, v101, v99, v95 op_sel_hi:[0,1,1]
	v_pk_fma_f16 v97, v101, v100, v97 op_sel_hi:[0,1,1]
	;; [unrolled: 1-line block ×3, first 2 shown]
	v_pack_b32_f16 v72, v102, v103
	v_pk_fma_f16 v81, v101, v72, v81 op_sel_hi:[0,1,1]
	v_lshl_add_u64 v[44:45], v[44:45], 0, s[52:53]
	v_lshl_add_u64 v[48:49], v[48:49], 0, s[52:53]
	s_waitcnt vmcnt(3)
	v_lshlrev_b32_e32 v72, 16, v82
	v_and_b32_e32 v73, 0xffff0000, v82
	v_lshlrev_b32_e32 v82, 16, v83
	v_and_b32_e32 v83, 0xffff0000, v83
	v_lshlrev_b32_e32 v99, 16, v84
	v_and_b32_e32 v84, 0xffff0000, v84
	v_lshlrev_b32_e32 v100, 16, v85
	v_and_b32_e32 v85, 0xffff0000, v85
	v_cvt_f16_f32_e32 v73, v73
	v_cvt_f16_f32_e32 v72, v72
	;; [unrolled: 1-line block ×8, first 2 shown]
	v_pack_b32_f16 v72, v72, v73
	v_pack_b32_f16 v101, v82, v83
	;; [unrolled: 1-line block ×4, first 2 shown]
	s_waitcnt lgkmcnt(3)
	v_pk_fma_f16 v51, v80, v72, v51 op_sel_hi:[0,1,1]
	v_lshl_add_u64 v[72:73], v[46:47], 0, s[26:27]
	v_pk_fma_f16 v74, v80, v101, v74 op_sel_hi:[0,1,1]
	v_pk_fma_f16 v94, v80, v99, v94 op_sel_hi:[0,1,1]
	;; [unrolled: 1-line block ×3, first 2 shown]
	global_load_dwordx4 v[82:85], v[72:73], off
	s_waitcnt vmcnt(3)
	v_lshlrev_b32_e32 v99, 16, v68
	v_and_b32_e32 v68, 0xffff0000, v68
	v_lshlrev_b32_e32 v100, 16, v69
	v_and_b32_e32 v69, 0xffff0000, v69
	;; [unrolled: 2-line block ×4, first 2 shown]
	v_cvt_f16_f32_e32 v68, v68
	v_cvt_f16_f32_e32 v99, v99
	;; [unrolled: 1-line block ×8, first 2 shown]
	v_pack_b32_f16 v99, v99, v68
	v_pack_b32_f16 v100, v100, v69
	;; [unrolled: 1-line block ×4, first 2 shown]
	global_load_dwordx4 v[68:71], v[72:73], off offset:128
	s_waitcnt vmcnt(3)
	v_lshlrev_b32_e32 v72, 16, v86
	v_and_b32_e32 v73, 0xffff0000, v86
	v_cvt_f16_f32_e32 v73, v73
	v_cvt_f16_f32_e32 v72, v72
	v_lshlrev_b32_e32 v86, 16, v87
	v_and_b32_e32 v87, 0xffff0000, v87
	v_cvt_f16_f32_e32 v87, v87
	v_cvt_f16_f32_e32 v86, v86
	v_pk_fma_f16 v95, v80, v99, v95 op_sel_hi:[0,1,1]
	v_pk_fma_f16 v96, v80, v100, v96 op_sel_hi:[0,1,1]
	;; [unrolled: 1-line block ×4, first 2 shown]
	v_pack_b32_f16 v81, v72, v73
	v_lshlrev_b32_e32 v72, 16, v88
	v_and_b32_e32 v73, 0xffff0000, v88
	v_cvt_f16_f32_e32 v100, v73
	v_cvt_f16_f32_e32 v101, v72
	v_lshlrev_b32_e32 v72, 16, v89
	v_and_b32_e32 v73, 0xffff0000, v89
	s_waitcnt lgkmcnt(2)
	v_pk_fma_f16 v51, v79, v81, v51 op_sel_hi:[0,1,1]
	s_waitcnt vmcnt(2)
	v_lshlrev_b32_e32 v81, 16, v90
	v_and_b32_e32 v90, 0xffff0000, v90
	v_cvt_f16_f32_e32 v102, v73
	v_cvt_f16_f32_e32 v103, v72
	v_lshl_add_u64 v[72:73], v[40:41], 0, s[26:27]
	v_cvt_f16_f32_e32 v90, v90
	v_cvt_f16_f32_e32 v81, v81
	v_pack_b32_f16 v99, v86, v87
	global_load_dwordx4 v[86:89], v[72:73], off
	v_pack_b32_f16 v100, v101, v100
	v_pack_b32_f16 v81, v81, v90
	v_lshlrev_b32_e32 v90, 16, v91
	v_and_b32_e32 v91, 0xffff0000, v91
	v_pack_b32_f16 v101, v103, v102
	v_pk_fma_f16 v74, v79, v99, v74 op_sel_hi:[0,1,1]
	v_pk_fma_f16 v94, v79, v100, v94 op_sel_hi:[0,1,1]
	v_cvt_f16_f32_e32 v99, v91
	v_cvt_f16_f32_e32 v100, v90
	v_lshlrev_b32_e32 v90, 16, v92
	v_and_b32_e32 v91, 0xffff0000, v92
	v_pk_fma_f16 v98, v79, v101, v98 op_sel_hi:[0,1,1]
	v_cvt_f16_f32_e32 v101, v91
	v_cvt_f16_f32_e32 v102, v90
	v_lshlrev_b32_e32 v90, 16, v93
	v_and_b32_e32 v91, 0xffff0000, v93
	v_cvt_f16_f32_e32 v103, v91
	v_cvt_f16_f32_e32 v104, v90
	global_load_dwordx4 v[90:93], v[72:73], off offset:128
	v_pack_b32_f16 v72, v100, v99
	v_pack_b32_f16 v73, v102, v101
	;; [unrolled: 1-line block ×3, first 2 shown]
	v_pk_fma_f16 v81, v79, v81, v95 op_sel_hi:[0,1,1]
	v_pk_fma_f16 v72, v79, v72, v96 op_sel_hi:[0,1,1]
	;; [unrolled: 1-line block ×4, first 2 shown]
	v_lshl_add_u64 v[40:41], v[40:41], 0, s[52:53]
	v_lshl_add_u64 v[46:47], v[46:47], 0, s[52:53]
	s_waitcnt vmcnt(3)
	v_lshlrev_b32_e32 v80, 16, v82
	v_and_b32_e32 v82, 0xffff0000, v82
	v_lshlrev_b32_e32 v95, 16, v83
	v_and_b32_e32 v83, 0xffff0000, v83
	v_lshlrev_b32_e32 v96, 16, v84
	v_and_b32_e32 v84, 0xffff0000, v84
	v_lshlrev_b32_e32 v97, 16, v85
	v_and_b32_e32 v85, 0xffff0000, v85
	v_cvt_f16_f32_e32 v82, v82
	v_cvt_f16_f32_e32 v80, v80
	;; [unrolled: 1-line block ×8, first 2 shown]
	v_pack_b32_f16 v80, v80, v82
	v_pack_b32_f16 v82, v95, v83
	;; [unrolled: 1-line block ×4, first 2 shown]
	s_waitcnt lgkmcnt(1)
	v_pk_fma_f16 v51, v78, v80, v51 op_sel_hi:[0,1,1]
	v_pk_fma_f16 v74, v78, v82, v74 op_sel_hi:[0,1,1]
	v_pk_fma_f16 v80, v78, v83, v94 op_sel_hi:[0,1,1]
	v_pk_fma_f16 v82, v78, v84, v98 op_sel_hi:[0,1,1]
	s_waitcnt vmcnt(2)
	v_lshlrev_b32_e32 v83, 16, v68
	v_and_b32_e32 v68, 0xffff0000, v68
	v_lshlrev_b32_e32 v84, 16, v69
	v_and_b32_e32 v69, 0xffff0000, v69
	;; [unrolled: 2-line block ×4, first 2 shown]
	v_cvt_f16_f32_e32 v68, v68
	v_cvt_f16_f32_e32 v83, v83
	;; [unrolled: 1-line block ×8, first 2 shown]
	v_pack_b32_f16 v68, v83, v68
	v_pack_b32_f16 v69, v84, v69
	;; [unrolled: 1-line block ×4, first 2 shown]
	v_pk_fma_f16 v68, v78, v68, v81 op_sel_hi:[0,1,1]
	v_pk_fma_f16 v69, v78, v69, v72 op_sel_hi:[0,1,1]
	;; [unrolled: 1-line block ×4, first 2 shown]
	s_waitcnt vmcnt(1)
	v_lshlrev_b32_e32 v70, 16, v86
	v_and_b32_e32 v71, 0xffff0000, v86
	v_lshlrev_b32_e32 v72, 16, v87
	v_and_b32_e32 v73, 0xffff0000, v87
	;; [unrolled: 2-line block ×4, first 2 shown]
	v_cvt_f16_f32_e32 v71, v71
	v_cvt_f16_f32_e32 v70, v70
	;; [unrolled: 1-line block ×8, first 2 shown]
	v_pack_b32_f16 v70, v70, v71
	v_pack_b32_f16 v71, v72, v73
	;; [unrolled: 1-line block ×4, first 2 shown]
	s_waitcnt lgkmcnt(0)
	v_pk_fma_f16 v51, v77, v70, v51 op_sel_hi:[0,1,1]
	v_pk_fma_f16 v74, v77, v71, v74 op_sel_hi:[0,1,1]
	;; [unrolled: 1-line block ×4, first 2 shown]
	s_waitcnt vmcnt(0)
	v_lshlrev_b32_e32 v70, 16, v90
	v_and_b32_e32 v71, 0xffff0000, v90
	v_lshlrev_b32_e32 v79, 16, v91
	v_and_b32_e32 v80, 0xffff0000, v91
	;; [unrolled: 2-line block ×4, first 2 shown]
	v_cvt_f16_f32_e32 v71, v71
	v_cvt_f16_f32_e32 v70, v70
	;; [unrolled: 1-line block ×8, first 2 shown]
	v_pack_b32_f16 v70, v70, v71
	v_pack_b32_f16 v79, v79, v80
	;; [unrolled: 1-line block ×4, first 2 shown]
	v_pk_fma_f16 v71, v77, v70, v68 op_sel_hi:[0,1,1]
	v_pk_fma_f16 v70, v77, v79, v69 op_sel_hi:[0,1,1]
	;; [unrolled: 1-line block ×4, first 2 shown]
	s_cbranch_scc1 .LBB14_21
; %bb.20:                               ;   in Loop: Header=BB14_11 Depth=1
	v_mov_b32_e32 v76, v75
	s_branch .LBB14_11
.LBB14_21:
	s_cmp_lg_u64 s[24:25], 0
	v_or_b32_e32 v0, s3, v53
	s_cselect_b64 s[4:5], -1, 0
	v_cmp_eq_u32_e32 vcc, 0, v0
	s_and_b64 s[6:7], vcc, s[4:5]
	s_and_saveexec_b64 s[4:5], s[6:7]
	s_cbranch_execz .LBB14_23
; %bb.22:
	s_lshl_b64 s[6:7], s[40:41], 2
	s_add_u32 s6, s24, s6
	s_addc_u32 s7, s25, s7
	s_load_dword s6, s[6:7], 0x0
	v_max_f32_e32 v0, v75, v75
	s_mov_b32 s7, 0x3fb8aa3b
	s_mov_b32 s8, 0xc2ce8ed0
	;; [unrolled: 1-line block ×3, first 2 shown]
	s_waitcnt lgkmcnt(0)
	v_max_f32_e64 v1, s6, s6
	v_max_f32_e32 v0, v1, v0
	v_sub_f32_e32 v1, v75, v0
	v_mul_f32_e32 v2, 0x3fb8aa3b, v1
	v_fma_f32 v3, v1, s7, -v2
	v_rndne_f32_e32 v4, v2
	v_fmac_f32_e32 v3, 0x32a5705f, v1
	v_sub_f32_e32 v2, v2, v4
	v_add_f32_e32 v2, v2, v3
	v_cvt_i32_f32_e32 v3, v4
	v_exp_f32_e32 v2, v2
	v_cmp_ngt_f32_e32 vcc, s8, v1
	v_mov_b32_e32 v75, v0
	v_ldexp_f32 v2, v2, v3
	v_sub_f32_e32 v3, s6, v0
	v_mul_f32_e32 v4, 0x3fb8aa3b, v3
	v_fma_f32 v5, v3, s7, -v4
	v_rndne_f32_e32 v6, v4
	v_fmac_f32_e32 v5, 0x32a5705f, v3
	v_sub_f32_e32 v4, v4, v6
	v_add_f32_e32 v4, v4, v5
	v_exp_f32_e32 v4, v4
	v_cvt_i32_f32_e32 v5, v6
	v_cndmask_b32_e32 v2, 0, v2, vcc
	v_mov_b32_e32 v6, 0x7f800000
	v_cmp_nlt_f32_e32 vcc, s9, v1
	s_nop 1
	v_cndmask_b32_e32 v1, v6, v2, vcc
	v_ldexp_f32 v2, v4, v5
	v_cmp_ngt_f32_e32 vcc, s8, v3
	v_cvt_f16_f32_e32 v4, v1
	v_pk_mul_f16 v51, v4, v51 op_sel_hi:[0,1]
	v_cndmask_b32_e32 v2, 0, v2, vcc
	v_cmp_nlt_f32_e32 vcc, s9, v3
	v_pk_mul_f16 v74, v4, v74 op_sel_hi:[0,1]
	v_pk_mul_f16 v73, v4, v73 op_sel_hi:[0,1]
	v_cndmask_b32_e32 v2, v6, v2, vcc
	v_cmp_eq_u32_e32 vcc, 0, v54
	v_pk_mul_f16 v72, v4, v72 op_sel_hi:[0,1]
	v_pk_mul_f16 v71, v4, v71 op_sel_hi:[0,1]
	v_cndmask_b32_e32 v2, 0, v2, vcc
	v_fmac_f32_e32 v2, v50, v1
	v_pk_mul_f16 v70, v4, v70 op_sel_hi:[0,1]
	v_pk_mul_f16 v69, v4, v69 op_sel_hi:[0,1]
	;; [unrolled: 1-line block ×3, first 2 shown]
	v_mov_b32_e32 v50, v2
.LBB14_23:
	s_or_b64 exec, exec, s[4:5]
	s_and_saveexec_b64 s[4:5], s[14:15]
	s_cbranch_execz .LBB14_25
; %bb.24:
	v_mov_b32_e32 v0, 0xfeffffff
	v_mov_b32_e32 v1, 0
	v_add_u32_e32 v2, 0x1000, v59
	ds_write2_b32 v2, v0, v1 offset1:32
.LBB14_25:
	s_or_b64 exec, exec, s[4:5]
	v_cmp_eq_u32_e32 vcc, 0, v54
	v_lshlrev_b32_e32 v6, 2, v53
	s_waitcnt lgkmcnt(0)
	s_barrier
	s_and_saveexec_b64 s[4:5], vcc
	s_cbranch_execz .LBB14_27
; %bb.26:
	ds_write_b32 v6, v75 offset:4096
.LBB14_27:
	s_or_b64 exec, exec, s[4:5]
	v_mbcnt_hi_u32_b32 v4, -1, v55
	s_waitcnt lgkmcnt(0)
	s_barrier
	ds_read_b32 v0, v59 offset:4096
	v_and_b32_e32 v1, 0x60, v4
	v_add_u32_e32 v7, 32, v1
	v_xor_b32_e32 v1, 16, v4
	v_cmp_lt_i32_e64 s[4:5], v1, v7
	s_nop 1
	v_cndmask_b32_e64 v1, v4, v1, s[4:5]
	v_lshlrev_b32_e32 v5, 2, v1
	s_waitcnt lgkmcnt(0)
	ds_bpermute_b32 v1, v5, v0
	v_max_f32_e32 v0, v0, v0
	s_waitcnt lgkmcnt(0)
	v_max_f32_e32 v1, v1, v1
	v_max_f32_e32 v0, v0, v1
	v_xor_b32_e32 v1, 8, v4
	v_cmp_lt_i32_e64 s[4:5], v1, v7
	s_nop 1
	v_cndmask_b32_e64 v1, v4, v1, s[4:5]
	v_lshlrev_b32_e32 v1, 2, v1
	ds_bpermute_b32 v2, v1, v0
	s_waitcnt lgkmcnt(0)
	v_max_f32_e32 v2, v2, v2
	v_max_f32_e32 v0, v0, v2
	v_xor_b32_e32 v2, 4, v4
	v_cmp_lt_i32_e64 s[4:5], v2, v7
	s_nop 1
	v_cndmask_b32_e64 v2, v4, v2, s[4:5]
	v_lshlrev_b32_e32 v2, 2, v2
	ds_bpermute_b32 v3, v2, v0
	;; [unrolled: 9-line block ×4, first 2 shown]
	s_mov_b32 s4, 0x3fb8aa3b
	s_waitcnt lgkmcnt(0)
	v_max_f32_e32 v7, v7, v7
	v_max_f32_e32 v0, v0, v7
	v_sub_f32_e32 v7, v75, v0
	v_mul_f32_e32 v8, 0x3fb8aa3b, v7
	v_fma_f32 v9, v7, s4, -v8
	v_rndne_f32_e32 v10, v8
	v_fmamk_f32 v9, v7, 0x32a5705f, v9
	v_sub_f32_e32 v8, v8, v10
	v_add_f32_e32 v8, v8, v9
	v_exp_f32_e32 v8, v8
	v_cvt_i32_f32_e32 v9, v10
	s_mov_b32 s4, 0xc2ce8ed0
	v_cmp_ngt_f32_e64 s[4:5], s4, v7
	v_ldexp_f32 v8, v8, v9
	s_nop 0
	v_cndmask_b32_e64 v8, 0, v8, s[4:5]
	s_mov_b32 s4, 0x42b17218
	v_mov_b32_e32 v9, 0x7f800000
	v_cmp_nlt_f32_e64 s[4:5], s4, v7
	s_nop 1
	v_cndmask_b32_e64 v7, v9, v8, s[4:5]
	v_mul_f32_e32 v8, v50, v7
	ds_bpermute_b32 v8, v5, v8
	v_cvt_f16_f32_e32 v9, v7
	s_movk_i32 s4, 0x70
	s_waitcnt lgkmcnt(0)
	v_fmac_f32_e32 v8, v50, v7
	ds_bpermute_b32 v7, v1, v8
	v_pk_mul_f16 v10, v9, v51 op_sel_hi:[0,1]
	v_pk_mul_f16 v11, v9, v74 op_sel_hi:[0,1]
	v_pk_mul_f16 v12, v9, v73 op_sel_hi:[0,1]
	v_pk_mul_f16 v13, v9, v72 op_sel_hi:[0,1]
	s_waitcnt lgkmcnt(0)
	v_add_f32_e32 v7, v8, v7
	ds_bpermute_b32 v8, v2, v7
	v_pk_mul_f16 v14, v9, v71 op_sel_hi:[0,1]
	v_pk_mul_f16 v15, v9, v70 op_sel_hi:[0,1]
	;; [unrolled: 1-line block ×4, first 2 shown]
	s_waitcnt lgkmcnt(0)
	v_add_f32_e32 v7, v7, v8
	ds_bpermute_b32 v8, v3, v7
	v_lshlrev_b32_e32 v9, 5, v54
	v_and_b32_e32 v9, 0xf00, v9
	v_lshl_add_u32 v9, v53, 10, v9
	v_and_or_b32 v9, v52, s4, v9
	s_waitcnt lgkmcnt(0)
	v_add_f32_e32 v7, v7, v8
	ds_bpermute_b32 v8, v4, v7
	ds_write_b128 v9, v[10:13]
	ds_write_b128 v9, v[14:17] offset:128
	s_and_saveexec_b64 s[4:5], vcc
	s_cbranch_execz .LBB14_29
; %bb.28:
	s_waitcnt lgkmcnt(2)
	v_add_f32_e32 v7, v7, v8
	ds_write_b32 v6, v7 offset:4224
.LBB14_29:
	s_or_b64 exec, exec, s[4:5]
	s_waitcnt lgkmcnt(0)
	s_barrier
	ds_read_b32 v7, v59 offset:4224
	ds_read_u16 v6, v57
	ds_read_u16 v8, v57 offset:256
	ds_read_u16 v10, v57 offset:512
	;; [unrolled: 1-line block ×6, first 2 shown]
	s_waitcnt lgkmcnt(7)
	ds_bpermute_b32 v9, v5, v7
	s_waitcnt lgkmcnt(7)
	v_cvt_f32_f16_e32 v5, v6
	s_waitcnt lgkmcnt(6)
	v_cvt_f32_f16_e32 v6, v8
	;; [unrolled: 2-line block ×4, first 2 shown]
	v_add_f32_e32 v5, 0, v5
	v_add_f32_e32 v5, v5, v6
	s_waitcnt lgkmcnt(3)
	v_cvt_f32_f16_e32 v6, v12
	v_add_f32_e32 v5, v5, v8
	s_waitcnt lgkmcnt(2)
	v_cvt_f32_f16_e32 v8, v13
	;; [unrolled: 3-line block ×3, first 2 shown]
	ds_read_u16 v11, v57 offset:1792
	ds_read_u16 v12, v57 offset:2048
	;; [unrolled: 1-line block ×8, first 2 shown]
	s_waitcnt lgkmcnt(7)
	v_cvt_f32_f16_e32 v11, v11
	v_add_f32_e32 v5, v5, v6
	v_add_f32_e32 v5, v5, v8
	s_waitcnt lgkmcnt(6)
	v_cvt_f32_f16_e32 v6, v12
	v_add_f32_e32 v5, v5, v10
	s_waitcnt lgkmcnt(5)
	v_cvt_f32_f16_e32 v10, v13
	v_add_f32_e32 v5, v5, v11
	s_waitcnt lgkmcnt(4)
	v_cvt_f32_f16_e32 v11, v14
	s_waitcnt lgkmcnt(3)
	v_cvt_f32_f16_e32 v8, v15
	v_add_f32_e32 v5, v5, v6
	v_add_f32_e32 v5, v5, v10
	;; [unrolled: 1-line block ×3, first 2 shown]
	v_pk_add_f32 v[6:7], v[6:7], v[8:9]
	ds_bpermute_b32 v9, v1, v7
	s_waitcnt lgkmcnt(3)
	v_cvt_f32_f16_e32 v8, v16
	ds_read_u16 v1, v57 offset:3840
	s_load_dword s4, s[0:1], 0xd4
	s_waitcnt lgkmcnt(0)
	v_pk_add_f32 v[6:7], v[6:7], v[8:9]
	ds_bpermute_b32 v9, v2, v7
	v_cvt_f32_f16_e32 v8, v17
	v_cvt_f32_f16_e32 v2, v18
	s_cmp_eq_u32 s4, 1
	s_waitcnt lgkmcnt(0)
	v_pk_add_f32 v[6:7], v[6:7], v[8:9]
	ds_bpermute_b32 v3, v3, v7
	s_waitcnt lgkmcnt(0)
	v_pk_add_f32 v[2:3], v[6:7], v[2:3]
	ds_bpermute_b32 v5, v4, v3
	v_cvt_f32_f16_e32 v4, v1
	v_mov_b32_e32 v6, s28
	v_mov_b32_e32 v7, s29
	s_waitcnt lgkmcnt(0)
	v_pk_add_f32 v[2:3], v[2:3], v[4:5]
	s_nop 0
	v_div_scale_f32 v1, s[0:1], v3, v3, v2
	v_rcp_f32_e32 v4, v1
	s_mul_i32 s0, s33, s34
	v_fma_f32 v5, -v1, v4, 1.0
	v_fmac_f32_e32 v4, v5, v4
	v_div_scale_f32 v5, vcc, v2, v3, v2
	v_mul_f32_e32 v8, v5, v4
	v_fma_f32 v9, -v1, v8, v5
	v_fmac_f32_e32 v8, v9, v4
	v_fma_f32 v1, -v1, v8, v5
	v_div_fmas_f32 v1, v1, v4, v8
	s_cselect_b64 vcc, -1, 0
	s_add_i32 s0, s0, s2
	s_mul_i32 s0, s0, s35
	s_add_i32 s0, s0, s40
	s_mul_i32 s0, s4, s0
	s_add_i32 s0, s0, s3
	v_div_fixup_f32 v1, v1, v3, v2
	s_cmp_lg_u32 s4, 1
	v_cndmask_b32_e32 v1, v2, v1, vcc
	v_lshl_or_b32 v4, s0, 7, v56
	v_mov_b32_e32 v5, 0
	s_cselect_b64 s[2:3], -1, 0
	v_cmp_eq_u32_e32 vcc, 0, v56
	v_lshl_add_u64 v[6:7], v[4:5], 2, v[6:7]
	s_and_b64 s[2:3], vcc, s[2:3]
	global_store_dword v[6:7], v1, off
	s_and_saveexec_b64 s[4:5], s[2:3]
	s_cbranch_execz .LBB14_31
; %bb.30:
	s_mov_b32 s1, 0
	s_lshl_b64 s[0:1], s[0:1], 3
	s_add_u32 s0, s30, s0
	s_addc_u32 s1, s31, s1
	v_mov_b32_e32 v1, v3
	global_store_dwordx2 v5, v[0:1], s[0:1]
.LBB14_31:
	s_endpgm
	.section	.rodata,"a",@progbits
	.p2align	6, 0x0
	.amdhsa_kernel _ZL18flash_attn_ext_vecILi128ELi1EL9ggml_type2ELS0_30ELb0EEvPKcS2_S2_S2_S2_PKiPfP15HIP_vector_typeIfLj2EEffffjfiS6_IjLj3EEiiiiiiiiiiiliiliiiiil
		.amdhsa_group_segment_fixed_size 4352
		.amdhsa_private_segment_fixed_size 0
		.amdhsa_kernarg_size 464
		.amdhsa_user_sgpr_count 2
		.amdhsa_user_sgpr_dispatch_ptr 0
		.amdhsa_user_sgpr_queue_ptr 0
		.amdhsa_user_sgpr_kernarg_segment_ptr 1
		.amdhsa_user_sgpr_dispatch_id 0
		.amdhsa_user_sgpr_kernarg_preload_length 0
		.amdhsa_user_sgpr_kernarg_preload_offset 0
		.amdhsa_user_sgpr_private_segment_size 0
		.amdhsa_uses_dynamic_stack 0
		.amdhsa_enable_private_segment 0
		.amdhsa_system_sgpr_workgroup_id_x 1
		.amdhsa_system_sgpr_workgroup_id_y 1
		.amdhsa_system_sgpr_workgroup_id_z 1
		.amdhsa_system_sgpr_workgroup_info 0
		.amdhsa_system_vgpr_workitem_id 1
		.amdhsa_next_free_vgpr 108
		.amdhsa_next_free_sgpr 66
		.amdhsa_accum_offset 108
		.amdhsa_reserve_vcc 1
		.amdhsa_float_round_mode_32 0
		.amdhsa_float_round_mode_16_64 0
		.amdhsa_float_denorm_mode_32 3
		.amdhsa_float_denorm_mode_16_64 3
		.amdhsa_dx10_clamp 1
		.amdhsa_ieee_mode 1
		.amdhsa_fp16_overflow 0
		.amdhsa_tg_split 0
		.amdhsa_exception_fp_ieee_invalid_op 0
		.amdhsa_exception_fp_denorm_src 0
		.amdhsa_exception_fp_ieee_div_zero 0
		.amdhsa_exception_fp_ieee_overflow 0
		.amdhsa_exception_fp_ieee_underflow 0
		.amdhsa_exception_fp_ieee_inexact 0
		.amdhsa_exception_int_div_zero 0
	.end_amdhsa_kernel
	.section	.text._ZL18flash_attn_ext_vecILi128ELi1EL9ggml_type2ELS0_30ELb0EEvPKcS2_S2_S2_S2_PKiPfP15HIP_vector_typeIfLj2EEffffjfiS6_IjLj3EEiiiiiiiiiiiliiliiiiil,"axG",@progbits,_ZL18flash_attn_ext_vecILi128ELi1EL9ggml_type2ELS0_30ELb0EEvPKcS2_S2_S2_S2_PKiPfP15HIP_vector_typeIfLj2EEffffjfiS6_IjLj3EEiiiiiiiiiiiliiliiiiil,comdat
.Lfunc_end14:
	.size	_ZL18flash_attn_ext_vecILi128ELi1EL9ggml_type2ELS0_30ELb0EEvPKcS2_S2_S2_S2_PKiPfP15HIP_vector_typeIfLj2EEffffjfiS6_IjLj3EEiiiiiiiiiiiliiliiiiil, .Lfunc_end14-_ZL18flash_attn_ext_vecILi128ELi1EL9ggml_type2ELS0_30ELb0EEvPKcS2_S2_S2_S2_PKiPfP15HIP_vector_typeIfLj2EEffffjfiS6_IjLj3EEiiiiiiiiiiiliiliiiiil
                                        ; -- End function
	.section	.AMDGPU.csdata,"",@progbits
; Kernel info:
; codeLenInByte = 10532
; NumSgprs: 72
; NumVgprs: 108
; NumAgprs: 0
; TotalNumVgprs: 108
; ScratchSize: 0
; MemoryBound: 0
; FloatMode: 240
; IeeeMode: 1
; LDSByteSize: 4352 bytes/workgroup (compile time only)
; SGPRBlocks: 8
; VGPRBlocks: 13
; NumSGPRsForWavesPerEU: 72
; NumVGPRsForWavesPerEU: 108
; AccumOffset: 108
; Occupancy: 4
; WaveLimiterHint : 1
; COMPUTE_PGM_RSRC2:SCRATCH_EN: 0
; COMPUTE_PGM_RSRC2:USER_SGPR: 2
; COMPUTE_PGM_RSRC2:TRAP_HANDLER: 0
; COMPUTE_PGM_RSRC2:TGID_X_EN: 1
; COMPUTE_PGM_RSRC2:TGID_Y_EN: 1
; COMPUTE_PGM_RSRC2:TGID_Z_EN: 1
; COMPUTE_PGM_RSRC2:TIDIG_COMP_CNT: 1
; COMPUTE_PGM_RSRC3_GFX90A:ACCUM_OFFSET: 26
; COMPUTE_PGM_RSRC3_GFX90A:TG_SPLIT: 0
	.section	.text._ZL33flash_attn_stream_k_fixup_uniformILi128ELi1ELi1EEvPfPK15HIP_vector_typeIfLj2EEiiiiiiS1_IjLj3EES5_S5_,"axG",@progbits,_ZL33flash_attn_stream_k_fixup_uniformILi128ELi1ELi1EEvPfPK15HIP_vector_typeIfLj2EEiiiiiiS1_IjLj3EES5_S5_,comdat
	.globl	_ZL33flash_attn_stream_k_fixup_uniformILi128ELi1ELi1EEvPfPK15HIP_vector_typeIfLj2EEiiiiiiS1_IjLj3EES5_S5_ ; -- Begin function _ZL33flash_attn_stream_k_fixup_uniformILi128ELi1ELi1EEvPfPK15HIP_vector_typeIfLj2EEiiiiiiS1_IjLj3EES5_S5_
	.p2align	8
	.type	_ZL33flash_attn_stream_k_fixup_uniformILi128ELi1ELi1EEvPfPK15HIP_vector_typeIfLj2EEiiiiiiS1_IjLj3EES5_S5_,@function
_ZL33flash_attn_stream_k_fixup_uniformILi128ELi1ELi1EEvPfPK15HIP_vector_typeIfLj2EEiiiiiiS1_IjLj3EES5_S5_: ; @_ZL33flash_attn_stream_k_fixup_uniformILi128ELi1ELi1EEvPfPK15HIP_vector_typeIfLj2EEiiiiiiS1_IjLj3EES5_S5_
; %bb.0:
	s_load_dwordx8 s[8:15], s[0:1], 0x1c
	s_load_dwordx2 s[6:7], s[0:1], 0x10
	s_load_dwordx4 s[16:19], s[0:1], 0x3c
	s_waitcnt lgkmcnt(0)
	s_mul_hi_u32 s5, s11, s2
	s_add_i32 s5, s2, s5
	s_lshr_b32 s5, s5, s12
	s_mul_i32 s11, s5, s13
	s_sub_i32 s12, s2, s11
	s_mul_hi_u32 s11, s12, s14
	s_add_i32 s11, s12, s11
	s_lshr_b32 s11, s11, s15
	s_mul_i32 s13, s11, s16
	s_sub_i32 s12, s12, s13
	;; [unrolled: 5-line block ×3, first 2 shown]
	s_add_i32 s17, s17, s3
	s_cmp_lt_i32 s17, s6
	s_cselect_b64 s[12:13], -1, 0
	s_add_i32 s16, s16, s4
	s_cmp_lt_i32 s16, s9
	s_cselect_b64 s[14:15], -1, 0
	s_and_b64 s[12:13], s[12:13], s[14:15]
	s_andn2_b64 vcc, exec, s[12:13]
	s_cbranch_vccnz .LBB15_6
; %bb.1:
	s_load_dwordx4 s[12:15], s[0:1], 0x0
	s_mul_i32 s5, s5, s6
	s_mul_i32 s11, s11, s9
	s_add_i32 s0, s17, s5
	s_mul_i32 s0, s0, s7
	s_add_i32 s1, s16, s11
	s_add_i32 s1, s1, s0
	v_lshl_or_b32 v4, s1, 7, v0
	s_waitcnt lgkmcnt(0)
	v_mov_b32_e32 v2, s12
	v_mov_b32_e32 v3, s13
	v_ashrrev_i32_e32 v5, 31, v4
	v_lshl_add_u64 v[2:3], v[4:5], 2, v[2:3]
	global_load_dword v7, v[2:3], off
	s_add_i32 s6, s3, s4
	s_mul_i32 s4, s2, s10
	s_add_i32 s5, s4, s10
	s_add_i32 s7, s6, s5
	s_add_i32 s0, s7, -1
	s_ashr_i32 s1, s0, 31
	s_lshl_b64 s[0:1], s[0:1], 3
	s_add_u32 s0, s14, s0
	s_addc_u32 s1, s15, s1
	s_load_dword s9, s[0:1], 0x4
	s_add_i32 s2, s5, -2
	s_cmp_lt_i32 s2, s4
	s_cbranch_scc1 .LBB15_4
; %bb.2:
	s_load_dword s0, s[0:1], 0x0
	s_lshl_b32 s2, s8, 2
	s_ashr_i32 s3, s2, 31
	s_lshl_b64 s[2:3], s[2:3], 2
	s_add_u32 s2, s14, s2
	v_lshl_or_b32 v0, s7, 7, v0
	s_addc_u32 s3, s15, s3
	s_add_i32 s5, s5, -1
	s_add_i32 s6, s6, s8
	v_add_u32_e32 v0, 0xffffff00, v0
	s_waitcnt lgkmcnt(0)
	v_mov_b32_e32 v6, s9
	v_mov_b32_e32 v5, s0
	s_mov_b32 s7, 0x3fb8aa3b
	s_mov_b32 s8, 0xc2ce8ed0
	;; [unrolled: 1-line block ×3, first 2 shown]
	v_mov_b32_e32 v4, 0x7f800000
	s_mov_b32 s10, 0xc1a00000
.LBB15_3:                               ; =>This Inner Loop Header: Depth=1
	v_ashrrev_i32_e32 v1, 31, v0
	v_lshl_add_u64 v[8:9], v[0:1], 2, s[2:3]
	global_load_dword v1, v[8:9], off
	s_add_i32 s5, s5, -1
	s_add_i32 s0, s5, s6
	s_ashr_i32 s1, s0, 31
	s_lshl_b64 s[0:1], s[0:1], 3
	s_add_u32 s0, s14, s0
	s_addc_u32 s1, s15, s1
	s_load_dwordx2 s[12:13], s[0:1], 0x0
	s_waitcnt vmcnt(1)
	v_mov_b32_e32 v8, v7
	v_max_f32_e32 v7, v5, v5
	v_mov_b32_e32 v9, v6
	v_add_u32_e32 v0, 0xffffff80, v0
	s_waitcnt lgkmcnt(0)
	v_max_f32_e64 v6, s12, s12
	v_max_f32_e32 v6, v7, v6
	v_sub_f32_e32 v10, s12, v6
	v_sub_f32_e32 v7, v5, v6
	v_mul_f32_e32 v11, 0x3fb8aa3b, v10
	v_mov_b32_e32 v5, v6
	v_mul_f32_e32 v6, 0x3fb8aa3b, v7
	v_fma_f32 v14, v10, s7, -v11
	v_rndne_f32_e32 v15, v11
	v_fma_f32 v12, v7, s7, -v6
	v_rndne_f32_e32 v13, v6
	v_fmac_f32_e32 v14, 0x32a5705f, v10
	v_sub_f32_e32 v11, v11, v15
	v_fmac_f32_e32 v12, 0x32a5705f, v7
	v_sub_f32_e32 v6, v6, v13
	v_add_f32_e32 v11, v11, v14
	v_cvt_i32_f32_e32 v15, v15
	v_add_f32_e32 v6, v6, v12
	v_exp_f32_e32 v11, v11
	v_cvt_i32_f32_e32 v13, v13
	v_exp_f32_e32 v6, v6
	v_cmp_ngt_f32_e32 vcc, s8, v10
	v_ldexp_f32 v11, v11, v15
	v_cmp_ngt_f32_e64 s[0:1], s8, v7
	v_ldexp_f32 v6, v6, v13
	v_cndmask_b32_e32 v11, 0, v11, vcc
	v_cmp_nlt_f32_e32 vcc, s9, v10
	v_cndmask_b32_e64 v6, 0, v6, s[0:1]
	v_cmp_nlt_f32_e64 s[0:1], s9, v7
	v_cndmask_b32_e32 v11, v4, v11, vcc
	v_cmp_le_f32_e32 vcc, s10, v10
	v_cndmask_b32_e64 v6, v4, v6, s[0:1]
	v_cmp_le_f32_e64 s[0:1], s10, v7
	v_cndmask_b32_e32 v7, 0, v11, vcc
	s_cmp_le_i32 s5, s4
	v_cndmask_b32_e64 v10, 0, v6, s[0:1]
	v_mul_f32_e32 v6, s13, v7
	v_fmac_f32_e32 v6, v9, v10
	s_waitcnt vmcnt(0)
	v_mul_f32_e32 v7, v1, v7
	v_fmac_f32_e32 v7, v8, v10
	s_cbranch_scc0 .LBB15_3
	s_branch .LBB15_5
.LBB15_4:
	s_waitcnt lgkmcnt(0)
	v_mov_b32_e32 v6, s9
.LBB15_5:
	s_waitcnt vmcnt(0)
	v_div_scale_f32 v0, s[0:1], v6, v6, v7
	v_rcp_f32_e32 v1, v0
	v_div_scale_f32 v4, vcc, v7, v6, v7
	v_fma_f32 v5, -v0, v1, 1.0
	v_fmac_f32_e32 v1, v5, v1
	v_mul_f32_e32 v5, v4, v1
	v_fma_f32 v8, -v0, v5, v4
	v_fmac_f32_e32 v5, v8, v1
	v_fma_f32 v0, -v0, v5, v4
	v_div_fmas_f32 v0, v0, v1, v5
	v_div_fixup_f32 v0, v0, v6, v7
	global_store_dword v[2:3], v0, off
.LBB15_6:
	s_endpgm
	.section	.rodata,"a",@progbits
	.p2align	6, 0x0
	.amdhsa_kernel _ZL33flash_attn_stream_k_fixup_uniformILi128ELi1ELi1EEvPfPK15HIP_vector_typeIfLj2EEiiiiiiS1_IjLj3EES5_S5_
		.amdhsa_group_segment_fixed_size 0
		.amdhsa_private_segment_fixed_size 0
		.amdhsa_kernarg_size 76
		.amdhsa_user_sgpr_count 2
		.amdhsa_user_sgpr_dispatch_ptr 0
		.amdhsa_user_sgpr_queue_ptr 0
		.amdhsa_user_sgpr_kernarg_segment_ptr 1
		.amdhsa_user_sgpr_dispatch_id 0
		.amdhsa_user_sgpr_kernarg_preload_length 0
		.amdhsa_user_sgpr_kernarg_preload_offset 0
		.amdhsa_user_sgpr_private_segment_size 0
		.amdhsa_uses_dynamic_stack 0
		.amdhsa_enable_private_segment 0
		.amdhsa_system_sgpr_workgroup_id_x 1
		.amdhsa_system_sgpr_workgroup_id_y 1
		.amdhsa_system_sgpr_workgroup_id_z 1
		.amdhsa_system_sgpr_workgroup_info 0
		.amdhsa_system_vgpr_workitem_id 0
		.amdhsa_next_free_vgpr 16
		.amdhsa_next_free_sgpr 20
		.amdhsa_accum_offset 16
		.amdhsa_reserve_vcc 1
		.amdhsa_float_round_mode_32 0
		.amdhsa_float_round_mode_16_64 0
		.amdhsa_float_denorm_mode_32 3
		.amdhsa_float_denorm_mode_16_64 3
		.amdhsa_dx10_clamp 1
		.amdhsa_ieee_mode 1
		.amdhsa_fp16_overflow 0
		.amdhsa_tg_split 0
		.amdhsa_exception_fp_ieee_invalid_op 0
		.amdhsa_exception_fp_denorm_src 0
		.amdhsa_exception_fp_ieee_div_zero 0
		.amdhsa_exception_fp_ieee_overflow 0
		.amdhsa_exception_fp_ieee_underflow 0
		.amdhsa_exception_fp_ieee_inexact 0
		.amdhsa_exception_int_div_zero 0
	.end_amdhsa_kernel
	.section	.text._ZL33flash_attn_stream_k_fixup_uniformILi128ELi1ELi1EEvPfPK15HIP_vector_typeIfLj2EEiiiiiiS1_IjLj3EES5_S5_,"axG",@progbits,_ZL33flash_attn_stream_k_fixup_uniformILi128ELi1ELi1EEvPfPK15HIP_vector_typeIfLj2EEiiiiiiS1_IjLj3EES5_S5_,comdat
.Lfunc_end15:
	.size	_ZL33flash_attn_stream_k_fixup_uniformILi128ELi1ELi1EEvPfPK15HIP_vector_typeIfLj2EEiiiiiiS1_IjLj3EES5_S5_, .Lfunc_end15-_ZL33flash_attn_stream_k_fixup_uniformILi128ELi1ELi1EEvPfPK15HIP_vector_typeIfLj2EEiiiiiiS1_IjLj3EES5_S5_
                                        ; -- End function
	.section	.AMDGPU.csdata,"",@progbits
; Kernel info:
; codeLenInByte = 764
; NumSgprs: 26
; NumVgprs: 16
; NumAgprs: 0
; TotalNumVgprs: 16
; ScratchSize: 0
; MemoryBound: 0
; FloatMode: 240
; IeeeMode: 1
; LDSByteSize: 0 bytes/workgroup (compile time only)
; SGPRBlocks: 3
; VGPRBlocks: 1
; NumSGPRsForWavesPerEU: 26
; NumVGPRsForWavesPerEU: 16
; AccumOffset: 16
; Occupancy: 8
; WaveLimiterHint : 0
; COMPUTE_PGM_RSRC2:SCRATCH_EN: 0
; COMPUTE_PGM_RSRC2:USER_SGPR: 2
; COMPUTE_PGM_RSRC2:TRAP_HANDLER: 0
; COMPUTE_PGM_RSRC2:TGID_X_EN: 1
; COMPUTE_PGM_RSRC2:TGID_Y_EN: 1
; COMPUTE_PGM_RSRC2:TGID_Z_EN: 1
; COMPUTE_PGM_RSRC2:TIDIG_COMP_CNT: 0
; COMPUTE_PGM_RSRC3_GFX90A:ACCUM_OFFSET: 3
; COMPUTE_PGM_RSRC3_GFX90A:TG_SPLIT: 0
	.section	.text._ZL33flash_attn_stream_k_fixup_generalILi128ELi1ELi1EEvPfPK15HIP_vector_typeIfLj2EEiiiiS1_IjLj3EES5_S5_S5_,"axG",@progbits,_ZL33flash_attn_stream_k_fixup_generalILi128ELi1ELi1EEvPfPK15HIP_vector_typeIfLj2EEiiiiS1_IjLj3EES5_S5_S5_,comdat
	.globl	_ZL33flash_attn_stream_k_fixup_generalILi128ELi1ELi1EEvPfPK15HIP_vector_typeIfLj2EEiiiiS1_IjLj3EES5_S5_S5_ ; -- Begin function _ZL33flash_attn_stream_k_fixup_generalILi128ELi1ELi1EEvPfPK15HIP_vector_typeIfLj2EEiiiiS1_IjLj3EES5_S5_S5_
	.p2align	8
	.type	_ZL33flash_attn_stream_k_fixup_generalILi128ELi1ELi1EEvPfPK15HIP_vector_typeIfLj2EEiiiiS1_IjLj3EES5_S5_S5_,@function
_ZL33flash_attn_stream_k_fixup_generalILi128ELi1ELi1EEvPfPK15HIP_vector_typeIfLj2EEiiiiS1_IjLj3EES5_S5_S5_: ; @_ZL33flash_attn_stream_k_fixup_generalILi128ELi1ELi1EEvPfPK15HIP_vector_typeIfLj2EEiiiiS1_IjLj3EES5_S5_S5_
; %bb.0:
	s_load_dwordx4 s[12:15], s[0:1], 0x10
	s_load_dword s22, s[0:1], 0x50
	s_mov_b32 s8, 0
	s_waitcnt lgkmcnt(0)
	s_mul_hi_i32 s9, s15, s2
	s_cmp_lg_u64 s[8:9], 0
	s_mul_i32 s5, s15, s2
	s_cbranch_scc0 .LBB16_21
; %bb.1:
	v_cvt_f32_u32_e32 v1, s22
	v_cvt_f32_ubyte0_e32 v2, 0
	s_sub_u32 s8, 0, s22
	s_subb_u32 s10, 0, 0
	v_fmamk_f32 v1, v2, 0x4f800000, v1
	v_rcp_f32_e32 v1, v1
	s_nop 0
	v_mul_f32_e32 v1, 0x5f7ffffc, v1
	v_mul_f32_e32 v2, 0x2f800000, v1
	v_trunc_f32_e32 v2, v2
	v_fmamk_f32 v1, v2, 0xcf800000, v1
	v_cvt_u32_f32_e32 v2, v2
	v_cvt_u32_f32_e32 v1, v1
	v_readfirstlane_b32 s11, v2
	v_readfirstlane_b32 s16, v1
	s_mul_i32 s17, s8, s11
	s_mul_hi_u32 s19, s8, s16
	s_mul_i32 s18, s10, s16
	s_add_i32 s17, s19, s17
	s_add_i32 s17, s17, s18
	s_mul_i32 s20, s8, s16
	s_mul_hi_u32 s18, s16, s17
	s_mul_i32 s19, s16, s17
	s_mul_hi_u32 s16, s16, s20
	s_add_u32 s16, s16, s19
	s_addc_u32 s18, 0, s18
	s_mul_hi_u32 s21, s11, s20
	s_mul_i32 s20, s11, s20
	s_add_u32 s16, s16, s20
	s_mul_hi_u32 s19, s11, s17
	s_addc_u32 s16, s18, s21
	s_addc_u32 s18, s19, 0
	s_mul_i32 s17, s11, s17
	s_add_u32 s16, s16, s17
	s_addc_u32 s17, 0, s18
	v_add_co_u32_e32 v1, vcc, s16, v1
	s_cmp_lg_u64 vcc, 0
	s_addc_u32 s11, s11, s17
	v_readfirstlane_b32 s17, v1
	s_mul_i32 s16, s8, s11
	s_mul_hi_u32 s18, s8, s17
	s_add_i32 s16, s18, s16
	s_mul_i32 s10, s10, s17
	s_add_i32 s16, s16, s10
	s_mul_i32 s8, s8, s17
	s_mul_hi_u32 s18, s11, s8
	s_mul_i32 s19, s11, s8
	s_mul_i32 s21, s17, s16
	s_mul_hi_u32 s8, s17, s8
	s_mul_hi_u32 s20, s17, s16
	s_add_u32 s8, s8, s21
	s_addc_u32 s17, 0, s20
	s_add_u32 s8, s8, s19
	s_mul_hi_u32 s10, s11, s16
	s_addc_u32 s8, s17, s18
	s_addc_u32 s10, s10, 0
	s_mul_i32 s16, s11, s16
	s_add_u32 s8, s8, s16
	s_addc_u32 s10, 0, s10
	v_add_co_u32_e32 v1, vcc, s8, v1
	s_cmp_lg_u64 vcc, 0
	s_addc_u32 s16, s11, s10
	s_ashr_i32 s10, s9, 31
	s_add_u32 s8, s5, s10
	s_mov_b32 s11, s10
	s_addc_u32 s9, s9, s10
	s_xor_b64 s[8:9], s[8:9], s[10:11]
	v_readfirstlane_b32 s19, v1
	s_mul_i32 s18, s8, s16
	s_mul_hi_u32 s20, s8, s19
	s_mul_hi_u32 s17, s8, s16
	s_add_u32 s18, s20, s18
	s_addc_u32 s17, 0, s17
	s_mul_hi_u32 s21, s9, s19
	s_mul_i32 s19, s9, s19
	s_add_u32 s18, s18, s19
	s_mul_hi_u32 s20, s9, s16
	s_addc_u32 s17, s17, s21
	s_addc_u32 s18, s20, 0
	s_mul_i32 s16, s9, s16
	s_add_u32 s16, s17, s16
	s_addc_u32 s17, 0, s18
	s_add_u32 s18, s16, 1
	s_addc_u32 s19, s17, 0
	s_add_u32 s20, s16, 2
	s_mul_i32 s23, s22, s17
	s_mul_hi_u32 s24, s22, s16
	s_addc_u32 s21, s17, 0
	s_add_i32 s24, s24, s23
	s_mul_i32 s23, s22, s16
	v_mov_b32_e32 v1, s23
	v_sub_co_u32_e32 v1, vcc, s8, v1
	s_cmp_lg_u64 vcc, 0
	s_subb_u32 s8, s9, s24
	v_subrev_co_u32_e32 v2, vcc, s22, v1
	s_cmp_lg_u64 vcc, 0
	s_subb_u32 s9, s8, 0
	v_readfirstlane_b32 s23, v2
	s_cmp_ge_u32 s23, s22
	s_cselect_b32 s23, -1, 0
	s_cmp_eq_u32 s9, 0
	s_cselect_b32 s9, s23, -1
	s_cmp_lg_u32 s9, 0
	s_cselect_b32 s9, s21, s19
	v_readfirstlane_b32 s19, v1
	s_cselect_b32 s18, s20, s18
	s_cmp_ge_u32 s19, s22
	s_cselect_b32 s19, -1, 0
	s_cmp_eq_u32 s8, 0
	s_cselect_b32 s8, s19, -1
	s_cmp_lg_u32 s8, 0
	s_cselect_b32 s9, s9, s17
	s_cselect_b32 s8, s18, s16
	s_xor_b64 s[8:9], s[8:9], s[10:11]
	s_sub_u32 s20, s8, s10
	s_load_dwordx4 s[16:19], s[0:1], 0x44
	s_cbranch_execnz .LBB16_3
.LBB16_2:
	v_cvt_f32_u32_e32 v1, s22
	s_sub_i32 s6, 0, s22
	v_rcp_iflag_f32_e32 v1, v1
	s_nop 0
	v_mul_f32_e32 v1, 0x4f7ffffe, v1
	v_cvt_u32_f32_e32 v1, v1
	s_nop 0
	v_readfirstlane_b32 s7, v1
	s_mul_i32 s6, s6, s7
	s_mul_hi_u32 s6, s7, s6
	s_add_i32 s7, s7, s6
	s_mul_hi_u32 s6, s5, s7
	s_mul_i32 s8, s6, s22
	s_sub_i32 s5, s5, s8
	s_add_i32 s7, s6, 1
	s_sub_i32 s8, s5, s22
	s_cmp_ge_u32 s5, s22
	s_cselect_b32 s6, s7, s6
	s_cselect_b32 s5, s8, s5
	s_add_i32 s7, s6, 1
	s_cmp_ge_u32 s5, s22
	s_cselect_b32 s20, s7, s6
.LBB16_3:
	s_add_i32 s5, s2, 1
	s_mul_hi_i32 s9, s15, s5
	s_mov_b32 s8, 0
	s_cmp_lg_u64 s[8:9], 0
	s_mul_i32 s5, s15, s5
	s_cbranch_scc0 .LBB16_22
; %bb.4:
	v_cvt_f32_u32_e32 v1, s22
	v_cvt_f32_ubyte0_e32 v2, 0
	s_sub_u32 s8, 0, s22
	s_subb_u32 s10, 0, 0
	v_fmamk_f32 v1, v2, 0x4f800000, v1
	v_rcp_f32_e32 v1, v1
	s_nop 0
	v_mul_f32_e32 v1, 0x5f7ffffc, v1
	v_mul_f32_e32 v2, 0x2f800000, v1
	v_trunc_f32_e32 v2, v2
	v_fmamk_f32 v1, v2, 0xcf800000, v1
	v_cvt_u32_f32_e32 v2, v2
	v_cvt_u32_f32_e32 v1, v1
	v_readfirstlane_b32 s11, v2
	s_waitcnt lgkmcnt(0)
	v_readfirstlane_b32 s19, v1
	s_mul_i32 s21, s8, s11
	s_mul_hi_u32 s24, s8, s19
	s_mul_i32 s23, s10, s19
	s_add_i32 s21, s24, s21
	s_add_i32 s21, s21, s23
	s_mul_i32 s25, s8, s19
	s_mul_hi_u32 s23, s19, s21
	s_mul_i32 s24, s19, s21
	s_mul_hi_u32 s19, s19, s25
	s_add_u32 s19, s19, s24
	s_addc_u32 s23, 0, s23
	s_mul_hi_u32 s26, s11, s25
	s_mul_i32 s25, s11, s25
	s_add_u32 s19, s19, s25
	s_mul_hi_u32 s24, s11, s21
	s_addc_u32 s19, s23, s26
	s_addc_u32 s23, s24, 0
	s_mul_i32 s21, s11, s21
	s_add_u32 s19, s19, s21
	s_addc_u32 s21, 0, s23
	v_add_co_u32_e32 v1, vcc, s19, v1
	s_cmp_lg_u64 vcc, 0
	s_addc_u32 s11, s11, s21
	v_readfirstlane_b32 s21, v1
	s_mul_i32 s19, s8, s11
	s_mul_hi_u32 s23, s8, s21
	s_add_i32 s19, s23, s19
	s_mul_i32 s10, s10, s21
	s_add_i32 s19, s19, s10
	s_mul_i32 s8, s8, s21
	s_mul_hi_u32 s23, s11, s8
	s_mul_i32 s24, s11, s8
	s_mul_i32 s26, s21, s19
	s_mul_hi_u32 s8, s21, s8
	s_mul_hi_u32 s25, s21, s19
	s_add_u32 s8, s8, s26
	s_addc_u32 s21, 0, s25
	s_add_u32 s8, s8, s24
	s_mul_hi_u32 s10, s11, s19
	s_addc_u32 s8, s21, s23
	s_addc_u32 s10, s10, 0
	s_mul_i32 s19, s11, s19
	s_add_u32 s8, s8, s19
	s_addc_u32 s10, 0, s10
	v_add_co_u32_e32 v1, vcc, s8, v1
	s_cmp_lg_u64 vcc, 0
	s_addc_u32 s19, s11, s10
	s_ashr_i32 s10, s9, 31
	s_add_u32 s8, s5, s10
	s_mov_b32 s11, s10
	s_addc_u32 s9, s9, s10
	s_xor_b64 s[8:9], s[8:9], s[10:11]
	v_readfirstlane_b32 s23, v1
	s_mul_i32 s21, s8, s19
	s_mul_hi_u32 s24, s8, s23
	s_mul_hi_u32 s11, s8, s19
	s_add_u32 s21, s24, s21
	s_addc_u32 s11, 0, s11
	s_mul_hi_u32 s25, s9, s23
	s_mul_i32 s23, s9, s23
	s_add_u32 s21, s21, s23
	s_mul_hi_u32 s24, s9, s19
	s_addc_u32 s11, s11, s25
	s_addc_u32 s21, s24, 0
	s_mul_i32 s19, s9, s19
	s_add_u32 s11, s11, s19
	s_addc_u32 s19, 0, s21
	s_mul_i32 s19, s22, s19
	s_mul_hi_u32 s24, s22, s11
	s_add_i32 s24, s24, s19
	s_mul_i32 s19, s22, s11
	v_mov_b32_e32 v1, s19
	s_add_u32 s21, s11, 1
	s_add_u32 s23, s11, 2
	v_sub_co_u32_e32 v1, vcc, s8, v1
	s_cmp_lg_u64 vcc, 0
	s_subb_u32 s8, s9, s24
	v_subrev_co_u32_e32 v2, vcc, s22, v1
	s_cmp_lg_u64 vcc, 0
	s_subb_u32 s9, s8, 0
	v_cmp_le_u32_e32 vcc, s22, v2
	s_cmp_eq_u32 s9, 0
	v_mov_b32_e32 v3, s21
	v_cndmask_b32_e64 v2, 0, -1, vcc
	s_cselect_b64 vcc, -1, 0
	v_cndmask_b32_e32 v2, -1, v2, vcc
	v_mov_b32_e32 v4, s23
	v_cmp_ne_u32_e32 vcc, 0, v2
	s_cmp_eq_u32 s8, 0
	s_nop 0
	v_cndmask_b32_e32 v2, v3, v4, vcc
	v_cmp_le_u32_e32 vcc, s22, v1
	v_mov_b32_e32 v3, s11
	s_nop 0
	v_cndmask_b32_e64 v1, 0, -1, vcc
	s_cselect_b64 vcc, -1, 0
	v_cndmask_b32_e32 v1, -1, v1, vcc
	v_cmp_ne_u32_e32 vcc, 0, v1
	s_nop 1
	v_cndmask_b32_e32 v1, v3, v2, vcc
	v_xor_b32_e32 v1, s10, v1
	v_subrev_co_u32_e32 v2, vcc, s10, v1
	s_cbranch_execnz .LBB16_6
.LBB16_5:
	v_cvt_f32_u32_e32 v1, s22
	s_sub_i32 s6, 0, s22
	s_mov_b32 s7, 0
	v_rcp_iflag_f32_e32 v1, v1
	s_nop 0
	v_mul_f32_e32 v1, 0x4f7ffffe, v1
	v_cvt_u32_f32_e32 v1, v1
	s_nop 0
	v_readfirstlane_b32 s8, v1
	s_mul_i32 s6, s6, s8
	s_mul_hi_u32 s6, s8, s6
	s_add_i32 s8, s8, s6
	s_mul_hi_u32 s6, s5, s8
	s_mul_i32 s9, s6, s22
	s_sub_i32 s5, s5, s9
	s_add_i32 s8, s6, 1
	s_sub_i32 s9, s5, s22
	s_cmp_ge_u32 s5, s22
	s_cselect_b32 s6, s8, s6
	s_cselect_b32 s5, s9, s5
	s_add_i32 s8, s6, 1
	s_cmp_ge_u32 s5, s22
	s_cselect_b32 s6, s8, s6
	v_mov_b64_e32 v[2:3], s[6:7]
.LBB16_6:
	s_waitcnt lgkmcnt(0)
	s_mul_hi_u32 s5, s20, s16
	s_add_i32 s5, s5, s20
	v_mul_hi_u32 v1, v2, s16
	s_lshr_b32 s19, s5, s17
	v_add_u32_e32 v1, v1, v2
	s_mul_i32 s5, s19, s18
	v_lshrrev_b32_e32 v1, s17, v1
	s_cmp_eq_u32 s5, s20
	v_cmp_eq_u32_e64 s[6:7], s19, v1
	v_mul_lo_u32 v1, v1, s18
	v_cmp_eq_u32_e32 vcc, s20, v2
	s_cselect_b64 s[10:11], -1, 0
	v_cmp_ne_u32_e64 s[8:9], v1, v2
	s_and_b64 s[6:7], s[6:7], s[8:9]
	s_or_b64 s[8:9], vcc, s[10:11]
	s_or_b64 s[6:7], s[8:9], s[6:7]
	s_and_b64 vcc, exec, s[6:7]
	s_cbranch_vccnz .LBB16_24
; %bb.7:
	s_load_dwordx8 s[24:31], s[0:1], 0x20
	s_load_dword s5, s[0:1], 0x40
	s_waitcnt lgkmcnt(0)
	s_mul_hi_u32 s6, s20, s24
	s_add_i32 s6, s6, s20
	s_lshr_b32 s7, s6, s25
	s_mul_i32 s6, s7, s26
	s_sub_i32 s6, s20, s6
	s_mul_hi_u32 s8, s6, s27
	s_add_i32 s8, s6, s8
	s_lshr_b32 s23, s8, s28
	s_mul_i32 s8, s23, s29
	s_sub_i32 s6, s6, s8
	;; [unrolled: 5-line block ×3, first 2 shown]
	s_mul_hi_u32 s6, s5, s16
	s_add_i32 s5, s5, s6
	s_lshr_b32 s24, s5, s17
	s_add_i32 s24, s24, s3
	s_cmp_lt_i32 s24, s12
	s_cselect_b64 s[8:9], -1, 0
	s_add_i32 s25, s25, s4
	s_cmp_lt_i32 s25, s14
	s_cselect_b64 s[10:11], -1, 0
	s_and_b64 s[8:9], s[8:9], s[10:11]
	s_andn2_b64 vcc, exec, s[8:9]
	s_mov_b32 s6, 0
	s_cbranch_vccnz .LBB16_24
; %bb.8:
	s_load_dwordx4 s[8:11], s[0:1], 0x0
	s_lshl_b32 s0, s22, 2
	s_mov_b32 s1, s6
	s_add_i32 s21, s3, s4
	s_lshl_b64 s[0:1], s[0:1], 2
	s_waitcnt lgkmcnt(0)
	s_add_u32 s4, s10, s0
	s_mul_i32 s7, s7, s12
	s_addc_u32 s5, s11, s1
	s_mul_i32 s23, s23, s14
	s_add_i32 s0, s24, s7
	s_mul_i32 s0, s0, s13
	s_add_i32 s1, s25, s23
	s_add_i32 s1, s1, s0
	v_lshl_or_b32 v4, s1, 7, v0
	v_mov_b32_e32 v2, s8
	v_mov_b32_e32 v3, s9
	v_ashrrev_i32_e32 v5, 31, v4
	v_lshl_add_u64 v[2:3], v[4:5], 2, v[2:3]
	global_load_dword v1, v[2:3], off
	v_cvt_f32_u32_e32 v4, s22
	v_cvt_f32_ubyte0_e32 v5, 0
	s_add_i32 s0, s21, s2
	s_ashr_i32 s1, s0, 31
	v_fmac_f32_e32 v4, 0x4f800000, v5
	v_rcp_f32_e32 v4, v4
	v_cvt_f32_u32_e32 v5, s22
	s_lshl_b64 s[0:1], s[0:1], 3
	s_add_u32 s0, s10, s0
	v_mul_f32_e32 v4, 0x5f7ffffc, v4
	v_rcp_iflag_f32_e32 v5, v5
	v_mul_f32_e32 v9, 0x2f800000, v4
	s_addc_u32 s1, s11, s1
	v_trunc_f32_e32 v10, v9
	s_load_dwordx2 s[0:1], s[0:1], 0x0
	v_fmac_f32_e32 v4, 0xcf800000, v10
	v_cvt_u32_f32_e32 v9, v4
	v_mul_f32_e32 v4, 0x4f7ffffe, v5
	v_cvt_u32_f32_e32 v10, v10
	v_cvt_u32_f32_e32 v11, v4
	s_add_i32 s12, s2, -1
	s_waitcnt lgkmcnt(0)
	v_mov_b32_e32 v6, s1
	v_mov_b32_e32 v7, s0
	;; [unrolled: 1-line block ×3, first 2 shown]
	s_mov_b32 s8, 0x3fb8aa3b
	s_mov_b32 s9, 0xc2ce8ed0
	;; [unrolled: 1-line block ×4, first 2 shown]
	v_mov_b32_e32 v12, 0x7f800000
	s_mul_hi_i32 s7, s12, s15
	s_cmp_lg_u64 s[6:7], 0
	s_mul_i32 s2, s12, s15
	s_cbranch_scc0 .LBB16_15
.LBB16_9:
	s_sub_u32 s0, 0, s22
	v_readfirstlane_b32 s3, v9
	v_readfirstlane_b32 s24, v10
	s_subb_u32 s1, 0, 0
	s_mul_hi_u32 s23, s0, s3
	s_mul_i32 s25, s0, s24
	s_mul_i32 s20, s1, s3
	s_add_i32 s23, s23, s25
	s_add_i32 s23, s23, s20
	s_mul_i32 s26, s0, s3
	s_mul_hi_u32 s20, s3, s23
	s_mul_i32 s25, s3, s23
	s_mul_hi_u32 s3, s3, s26
	s_add_u32 s3, s3, s25
	s_addc_u32 s20, 0, s20
	s_mul_hi_u32 s27, s24, s26
	s_mul_i32 s26, s24, s26
	s_add_u32 s3, s3, s26
	s_mul_hi_u32 s25, s24, s23
	s_addc_u32 s3, s20, s27
	s_addc_u32 s20, s25, 0
	s_mul_i32 s23, s24, s23
	s_add_u32 s3, s3, s23
	s_addc_u32 s20, 0, s20
	v_add_co_u32_e32 v4, vcc, s3, v9
	s_cmp_lg_u64 vcc, 0
	s_addc_u32 s3, s24, s20
	v_readfirstlane_b32 s23, v4
	s_mul_i32 s20, s0, s3
	s_mul_hi_u32 s24, s0, s23
	s_add_i32 s20, s24, s20
	s_mul_i32 s1, s1, s23
	s_add_i32 s20, s20, s1
	s_mul_i32 s0, s0, s23
	s_mul_hi_u32 s24, s3, s0
	s_mul_i32 s25, s3, s0
	s_mul_i32 s27, s23, s20
	s_mul_hi_u32 s0, s23, s0
	s_mul_hi_u32 s26, s23, s20
	s_add_u32 s0, s0, s27
	s_addc_u32 s23, 0, s26
	s_add_u32 s0, s0, s25
	s_mul_hi_u32 s1, s3, s20
	s_addc_u32 s0, s23, s24
	s_addc_u32 s1, s1, 0
	s_mul_i32 s20, s3, s20
	s_add_u32 s0, s0, s20
	s_addc_u32 s1, 0, s1
	v_add_co_u32_e32 v4, vcc, s0, v4
	s_cmp_lg_u64 vcc, 0
	s_addc_u32 s3, s3, s1
	s_ashr_i32 s0, s7, 31
	s_add_u32 s24, s2, s0
	s_mov_b32 s1, s0
	s_addc_u32 s25, s7, s0
	s_xor_b64 s[24:25], s[24:25], s[0:1]
	v_readfirstlane_b32 s20, v4
	s_mul_i32 s7, s24, s3
	s_mul_hi_u32 s23, s24, s20
	s_mul_hi_u32 s1, s24, s3
	s_add_u32 s7, s23, s7
	s_addc_u32 s1, 0, s1
	s_mul_hi_u32 s26, s25, s20
	s_mul_i32 s20, s25, s20
	s_add_u32 s7, s7, s20
	s_mul_hi_u32 s23, s25, s3
	s_addc_u32 s1, s1, s26
	s_addc_u32 s7, s23, 0
	s_mul_i32 s3, s25, s3
	s_add_u32 s1, s1, s3
	s_addc_u32 s3, 0, s7
	s_mul_i32 s3, s22, s3
	s_mul_hi_u32 s23, s22, s1
	s_add_i32 s23, s23, s3
	s_mul_i32 s3, s22, s1
	v_mov_b32_e32 v4, s3
	s_add_u32 s7, s1, 1
	s_add_u32 s20, s1, 2
	v_sub_co_u32_e32 v4, vcc, s24, v4
	s_cmp_lg_u64 vcc, 0
	s_subb_u32 s3, s25, s23
	v_subrev_co_u32_e32 v5, vcc, s22, v4
	s_cmp_lg_u64 vcc, 0
	s_subb_u32 s23, s3, 0
	v_cmp_le_u32_e32 vcc, s22, v5
	s_cmp_eq_u32 s23, 0
	v_mov_b32_e32 v13, s7
	v_cndmask_b32_e64 v5, 0, -1, vcc
	s_cselect_b64 vcc, -1, 0
	v_cndmask_b32_e32 v5, -1, v5, vcc
	v_mov_b32_e32 v14, s20
	v_cmp_ne_u32_e32 vcc, 0, v5
	s_cmp_eq_u32 s3, 0
	s_nop 0
	v_cndmask_b32_e32 v5, v13, v14, vcc
	v_cmp_le_u32_e32 vcc, s22, v4
	v_mov_b32_e32 v13, s1
	s_nop 0
	v_cndmask_b32_e64 v4, 0, -1, vcc
	s_cselect_b64 vcc, -1, 0
	v_cndmask_b32_e32 v4, -1, v4, vcc
	v_cmp_ne_u32_e32 vcc, 0, v4
	s_nop 1
	v_cndmask_b32_e32 v4, v13, v5, vcc
	v_xor_b32_e32 v4, s0, v4
	v_subrev_co_u32_e32 v4, vcc, s0, v4
	s_cbranch_execnz .LBB16_11
.LBB16_10:
	s_sub_i32 s0, 0, s22
	v_mul_lo_u32 v4, s0, v11
	v_mul_hi_u32 v4, v11, v4
	v_add_u32_e32 v4, v11, v4
	v_mul_hi_u32 v4, s2, v4
	v_mul_lo_u32 v13, v4, s22
	v_sub_u32_e32 v13, s2, v13
	v_add_u32_e32 v5, 1, v4
	v_subrev_u32_e32 v14, s22, v13
	v_cmp_le_u32_e32 vcc, s22, v13
	s_nop 1
	v_cndmask_b32_e32 v13, v13, v14, vcc
	v_cndmask_b32_e32 v4, v4, v5, vcc
	v_add_u32_e32 v5, 1, v4
	v_cmp_le_u32_e32 vcc, s22, v13
	s_nop 1
	v_cndmask_b32_e32 v4, v4, v5, vcc
.LBB16_11:
	v_cmp_ne_u32_e32 vcc, v8, v4
	s_cbranch_vccz .LBB16_14
; %bb.12:
	s_add_i32 s20, s12, s21
	v_mul_hi_u32 v5, v4, s16
	s_add_i32 s0, s20, s22
	s_mov_b32 s1, s6
	v_add_u32_e32 v5, v5, v4
	s_lshl_b64 s[0:1], s[0:1], 3
	v_lshrrev_b32_e32 v5, s17, v5
	s_add_u32 s2, s10, s0
	v_mul_lo_u32 v13, v5, s18
	s_addc_u32 s3, s11, s1
	v_cmp_eq_u32_e32 vcc, v13, v4
	v_cmp_gt_u32_e64 s[0:1], s19, v5
	s_or_b64 s[0:1], s[0:1], vcc
	s_and_b64 vcc, exec, s[0:1]
	s_cbranch_vccnz .LBB16_16
; %bb.13:
	s_add_i32 s7, s12, -1
	s_mov_b64 s[0:1], 0
	s_branch .LBB16_17
.LBB16_14:
                                        ; implicit-def: $sgpr0_sgpr1
                                        ; implicit-def: $vgpr14
                                        ; implicit-def: $vgpr5
                                        ; implicit-def: $vgpr13
                                        ; implicit-def: $sgpr7
                                        ; implicit-def: $vgpr4
	s_branch .LBB16_18
.LBB16_15:
                                        ; implicit-def: $vgpr4_vgpr5
	s_branch .LBB16_10
.LBB16_16:
	s_mov_b64 s[0:1], -1
	s_mov_b32 s7, s12
	v_mov_b32_e32 v4, v8
.LBB16_17:
	v_lshl_or_b32 v14, s20, 7, v0
	v_ashrrev_i32_e32 v15, 31, v14
	v_lshl_add_u64 v[14:15], v[14:15], 2, s[4:5]
	global_load_dword v14, v[14:15], off
	s_load_dwordx2 s[2:3], s[2:3], 0x0
	v_max_f32_e32 v5, v7, v7
	s_waitcnt lgkmcnt(0)
	v_max_f32_e64 v13, s2, s2
	v_max_f32_e32 v5, v5, v13
	v_sub_f32_e32 v13, v7, v5
	v_sub_f32_e32 v15, s2, v5
	v_mul_f32_e32 v16, 0x3fb8aa3b, v13
	v_mul_f32_e32 v17, 0x3fb8aa3b, v15
	v_fma_f32 v18, v13, s8, -v16
	v_rndne_f32_e32 v19, v16
	v_fma_f32 v20, v15, s8, -v17
	v_rndne_f32_e32 v21, v17
	v_fmac_f32_e32 v18, 0x32a5705f, v13
	v_sub_f32_e32 v16, v16, v19
	v_fmac_f32_e32 v20, 0x32a5705f, v15
	v_sub_f32_e32 v17, v17, v21
	v_add_f32_e32 v16, v16, v18
	v_cvt_i32_f32_e32 v19, v19
	v_add_f32_e32 v17, v17, v20
	v_exp_f32_e32 v16, v16
	v_cvt_i32_f32_e32 v21, v21
	v_exp_f32_e32 v17, v17
	v_cmp_ngt_f32_e32 vcc, s9, v13
	v_ldexp_f32 v16, v16, v19
	v_ldexp_f32 v17, v17, v21
	v_cndmask_b32_e32 v16, 0, v16, vcc
	v_cmp_ngt_f32_e32 vcc, s9, v15
	s_nop 1
	v_cndmask_b32_e32 v17, 0, v17, vcc
	v_cmp_nlt_f32_e32 vcc, s13, v13
	s_nop 1
	v_cndmask_b32_e32 v16, v12, v16, vcc
	v_cmp_nlt_f32_e32 vcc, s13, v15
	s_nop 1
	v_cndmask_b32_e32 v17, v12, v17, vcc
	v_cmp_le_f32_e32 vcc, s14, v13
	s_nop 1
	v_cndmask_b32_e32 v16, 0, v16, vcc
	v_cmp_le_f32_e32 vcc, s14, v15
	s_nop 1
	v_cndmask_b32_e32 v15, 0, v17, vcc
	v_mul_f32_e32 v13, s3, v15
	v_fmac_f32_e32 v13, v6, v16
	s_waitcnt vmcnt(0)
	v_mul_f32_e32 v14, v14, v15
	v_fmac_f32_e32 v14, v1, v16
	s_cbranch_execnz .LBB16_19
.LBB16_18:
	s_add_i32 s7, s12, -1
	s_mov_b64 s[0:1], 0
	v_mov_b32_e32 v4, v8
	v_mov_b32_e32 v13, v6
	;; [unrolled: 1-line block ×3, first 2 shown]
	s_waitcnt vmcnt(0)
	v_mov_b32_e32 v14, v1
.LBB16_19:
	s_andn2_b64 vcc, exec, s[0:1]
	s_cbranch_vccz .LBB16_23
; %bb.20:
	v_mov_b32_e32 v8, v4
	s_mov_b32 s12, s7
	v_mov_b32_e32 v6, v13
	v_mov_b32_e32 v7, v5
	s_waitcnt vmcnt(0)
	v_mov_b32_e32 v1, v14
	s_mul_hi_i32 s7, s12, s15
	s_cmp_lg_u64 s[6:7], 0
	s_mul_i32 s2, s12, s15
	s_cbranch_scc1 .LBB16_9
	s_branch .LBB16_15
.LBB16_21:
                                        ; implicit-def: $sgpr20_sgpr21
	s_load_dwordx4 s[16:19], s[0:1], 0x44
	s_branch .LBB16_2
.LBB16_22:
                                        ; implicit-def: $vgpr2_vgpr3
	s_branch .LBB16_5
.LBB16_23:
	v_div_scale_f32 v0, s[0:1], v13, v13, v14
	s_waitcnt vmcnt(0)
	v_rcp_f32_e32 v1, v0
	v_div_scale_f32 v4, vcc, v14, v13, v14
	v_fma_f32 v5, -v0, v1, 1.0
	v_fmac_f32_e32 v1, v5, v1
	v_mul_f32_e32 v5, v4, v1
	v_fma_f32 v6, -v0, v5, v4
	v_fmac_f32_e32 v5, v6, v1
	v_fma_f32 v0, -v0, v5, v4
	v_div_fmas_f32 v0, v0, v1, v5
	v_div_fixup_f32 v0, v0, v13, v14
	global_store_dword v[2:3], v0, off
.LBB16_24:
	s_endpgm
	.section	.rodata,"a",@progbits
	.p2align	6, 0x0
	.amdhsa_kernel _ZL33flash_attn_stream_k_fixup_generalILi128ELi1ELi1EEvPfPK15HIP_vector_typeIfLj2EEiiiiS1_IjLj3EES5_S5_S5_
		.amdhsa_group_segment_fixed_size 0
		.amdhsa_private_segment_fixed_size 0
		.amdhsa_kernarg_size 336
		.amdhsa_user_sgpr_count 2
		.amdhsa_user_sgpr_dispatch_ptr 0
		.amdhsa_user_sgpr_queue_ptr 0
		.amdhsa_user_sgpr_kernarg_segment_ptr 1
		.amdhsa_user_sgpr_dispatch_id 0
		.amdhsa_user_sgpr_kernarg_preload_length 0
		.amdhsa_user_sgpr_kernarg_preload_offset 0
		.amdhsa_user_sgpr_private_segment_size 0
		.amdhsa_uses_dynamic_stack 0
		.amdhsa_enable_private_segment 0
		.amdhsa_system_sgpr_workgroup_id_x 1
		.amdhsa_system_sgpr_workgroup_id_y 1
		.amdhsa_system_sgpr_workgroup_id_z 1
		.amdhsa_system_sgpr_workgroup_info 0
		.amdhsa_system_vgpr_workitem_id 0
		.amdhsa_next_free_vgpr 22
		.amdhsa_next_free_sgpr 32
		.amdhsa_accum_offset 24
		.amdhsa_reserve_vcc 1
		.amdhsa_float_round_mode_32 0
		.amdhsa_float_round_mode_16_64 0
		.amdhsa_float_denorm_mode_32 3
		.amdhsa_float_denorm_mode_16_64 3
		.amdhsa_dx10_clamp 1
		.amdhsa_ieee_mode 1
		.amdhsa_fp16_overflow 0
		.amdhsa_tg_split 0
		.amdhsa_exception_fp_ieee_invalid_op 0
		.amdhsa_exception_fp_denorm_src 0
		.amdhsa_exception_fp_ieee_div_zero 0
		.amdhsa_exception_fp_ieee_overflow 0
		.amdhsa_exception_fp_ieee_underflow 0
		.amdhsa_exception_fp_ieee_inexact 0
		.amdhsa_exception_int_div_zero 0
	.end_amdhsa_kernel
	.section	.text._ZL33flash_attn_stream_k_fixup_generalILi128ELi1ELi1EEvPfPK15HIP_vector_typeIfLj2EEiiiiS1_IjLj3EES5_S5_S5_,"axG",@progbits,_ZL33flash_attn_stream_k_fixup_generalILi128ELi1ELi1EEvPfPK15HIP_vector_typeIfLj2EEiiiiS1_IjLj3EES5_S5_S5_,comdat
.Lfunc_end16:
	.size	_ZL33flash_attn_stream_k_fixup_generalILi128ELi1ELi1EEvPfPK15HIP_vector_typeIfLj2EEiiiiS1_IjLj3EES5_S5_S5_, .Lfunc_end16-_ZL33flash_attn_stream_k_fixup_generalILi128ELi1ELi1EEvPfPK15HIP_vector_typeIfLj2EEiiiiS1_IjLj3EES5_S5_S5_
                                        ; -- End function
	.section	.AMDGPU.csdata,"",@progbits
; Kernel info:
; codeLenInByte = 2820
; NumSgprs: 38
; NumVgprs: 22
; NumAgprs: 0
; TotalNumVgprs: 22
; ScratchSize: 0
; MemoryBound: 0
; FloatMode: 240
; IeeeMode: 1
; LDSByteSize: 0 bytes/workgroup (compile time only)
; SGPRBlocks: 4
; VGPRBlocks: 2
; NumSGPRsForWavesPerEU: 38
; NumVGPRsForWavesPerEU: 22
; AccumOffset: 24
; Occupancy: 8
; WaveLimiterHint : 0
; COMPUTE_PGM_RSRC2:SCRATCH_EN: 0
; COMPUTE_PGM_RSRC2:USER_SGPR: 2
; COMPUTE_PGM_RSRC2:TRAP_HANDLER: 0
; COMPUTE_PGM_RSRC2:TGID_X_EN: 1
; COMPUTE_PGM_RSRC2:TGID_Y_EN: 1
; COMPUTE_PGM_RSRC2:TGID_Z_EN: 1
; COMPUTE_PGM_RSRC2:TIDIG_COMP_CNT: 0
; COMPUTE_PGM_RSRC3_GFX90A:ACCUM_OFFSET: 5
; COMPUTE_PGM_RSRC3_GFX90A:TG_SPLIT: 0
	.section	.text._ZL26flash_attn_combine_resultsILi128EEvPKfPK15HIP_vector_typeIfLj2EEPfi,"axG",@progbits,_ZL26flash_attn_combine_resultsILi128EEvPKfPK15HIP_vector_typeIfLj2EEPfi,comdat
	.globl	_ZL26flash_attn_combine_resultsILi128EEvPKfPK15HIP_vector_typeIfLj2EEPfi ; -- Begin function _ZL26flash_attn_combine_resultsILi128EEvPKfPK15HIP_vector_typeIfLj2EEPfi
	.p2align	8
	.type	_ZL26flash_attn_combine_resultsILi128EEvPKfPK15HIP_vector_typeIfLj2EEPfi,@function
_ZL26flash_attn_combine_resultsILi128EEvPKfPK15HIP_vector_typeIfLj2EEPfi: ; @_ZL26flash_attn_combine_resultsILi128EEvPKfPK15HIP_vector_typeIfLj2EEPfi
; %bb.0:
	s_load_dwordx2 s[6:7], s[0:1], 0x20
	s_load_dword s19, s[0:1], 0x18
	s_load_dwordx4 s[8:11], s[0:1], 0x0
	s_load_dwordx2 s[14:15], s[0:1], 0x10
	s_waitcnt lgkmcnt(0)
	s_mul_i32 s0, s6, s4
	s_add_i32 s0, s0, s2
	s_mul_i32 s18, s0, s7
	s_add_i32 s18, s18, s3
	s_lshl_b32 s20, s19, 1
	s_mul_i32 s0, s18, s19
	v_cmp_gt_i32_e32 vcc, s20, v0
	s_and_saveexec_b64 s[2:3], vcc
	s_cbranch_execz .LBB17_13
; %bb.1:
	v_xad_u32 v1, v0, -1, s20
	s_movk_i32 s4, 0x7f
	s_ashr_i32 s1, s0, 31
	v_cmp_lt_u32_e32 vcc, s4, v1
	s_mov_b64 s[6:7], -1
	v_mov_b32_e32 v2, v0
	s_and_saveexec_b64 s[4:5], vcc
	s_cbranch_execz .LBB17_10
; %bb.2:
	v_lshrrev_b32_e32 v6, 7, v1
	s_lshl_b64 s[6:7], s[0:1], 3
	v_add_u32_e32 v2, -1, v6
	s_add_u32 s6, s10, s6
	v_or_b32_e32 v1, 0x80, v0
	v_lshrrev_b32_e32 v3, 1, v2
	s_addc_u32 s7, s11, s7
	v_add_u32_e32 v7, 1, v3
	v_cmp_lt_u32_e32 vcc, 13, v2
	v_mov_b32_e32 v4, 0
	v_mov_b64_e32 v[2:3], v[0:1]
	s_and_saveexec_b64 s[12:13], vcc
	s_cbranch_execz .LBB17_6
; %bb.3:
	v_and_b32_e32 v8, -8, v7
	s_mov_b32 s21, 0
	v_lshl_add_u32 v9, v0, 2, 0
	s_mov_b64 s[16:17], 0
	v_mov_b32_e32 v5, 0
	v_mov_b64_e32 v[2:3], v[0:1]
.LBB17_4:                               ; =>This Inner Loop Header: Depth=1
	v_mov_b32_e32 v4, v2
	v_lshl_add_u64 v[24:25], v[4:5], 2, s[6:7]
	v_mov_b32_e32 v4, v3
	v_lshl_add_u64 v[26:27], v[4:5], 2, s[6:7]
	v_add_u32_e32 v4, 0x100, v2
	v_add_u32_e32 v10, 0x100, v3
	v_mov_b32_e32 v11, v5
	global_load_dword v1, v[24:25], off
	global_load_dword v28, v[26:27], off
	v_lshl_add_u64 v[24:25], v[4:5], 2, s[6:7]
	v_add_u32_e32 v4, 0x200, v2
	v_lshl_add_u64 v[10:11], v[10:11], 2, s[6:7]
	v_lshl_add_u64 v[26:27], v[4:5], 2, s[6:7]
	v_add_u32_e32 v4, 0x300, v2
	v_add_u32_e32 v12, 0x200, v3
	v_mov_b32_e32 v13, v5
	v_add_u32_e32 v14, 0x300, v3
	v_mov_b32_e32 v15, v5
	global_load_dword v29, v[24:25], off
	global_load_dword v30, v[10:11], off
	v_lshl_add_u64 v[10:11], v[4:5], 2, s[6:7]
	v_add_u32_e32 v4, 0x400, v2
	v_lshl_add_u64 v[12:13], v[12:13], 2, s[6:7]
	v_lshl_add_u64 v[14:15], v[14:15], 2, s[6:7]
	global_load_dword v24, v[26:27], off
	global_load_dword v25, v[12:13], off
	;; [unrolled: 1-line block ×4, first 2 shown]
	v_lshl_add_u64 v[10:11], v[4:5], 2, s[6:7]
	v_add_u32_e32 v4, 0x500, v2
	v_add_u32_e32 v16, 0x400, v3
	v_mov_b32_e32 v17, v5
	v_add_u32_e32 v18, 0x500, v3
	v_mov_b32_e32 v19, v5
	v_lshl_add_u64 v[12:13], v[4:5], 2, s[6:7]
	v_add_u32_e32 v4, 0x600, v2
	v_add_u32_e32 v20, 0x600, v3
	v_mov_b32_e32 v21, v5
	v_add_u32_e32 v22, 0x700, v3
	v_mov_b32_e32 v23, v5
	v_lshl_add_u64 v[16:17], v[16:17], 2, s[6:7]
	v_lshl_add_u64 v[18:19], v[18:19], 2, s[6:7]
	global_load_dword v14, v[10:11], off
	global_load_dword v15, v[16:17], off
	v_lshl_add_u64 v[10:11], v[4:5], 2, s[6:7]
	v_add_u32_e32 v4, 0x700, v2
	v_lshl_add_u64 v[20:21], v[20:21], 2, s[6:7]
	v_lshl_add_u64 v[22:23], v[22:23], 2, s[6:7]
	global_load_dword v16, v[12:13], off
	global_load_dword v17, v[18:19], off
	v_lshl_add_u64 v[12:13], v[4:5], 2, s[6:7]
	global_load_dword v18, v[10:11], off
	global_load_dword v19, v[20:21], off
	;; [unrolled: 1-line block ×4, first 2 shown]
	v_add_u32_e32 v8, -8, v8
	s_add_i32 s21, s21, 16
	v_cmp_eq_u32_e32 vcc, 0, v8
	v_add_u32_e32 v3, 0x800, v3
	v_mov_b32_e32 v4, s21
	s_or_b64 s[16:17], vcc, s[16:17]
	v_add_u32_e32 v2, 0x800, v2
	s_waitcnt vmcnt(14)
	ds_write2st64_b32 v9, v1, v28 offset1:2
	s_waitcnt vmcnt(12)
	ds_write2st64_b32 v9, v29, v30 offset0:4 offset1:6
	s_waitcnt vmcnt(10)
	ds_write2st64_b32 v9, v24, v25 offset0:8 offset1:10
	;; [unrolled: 2-line block ×7, first 2 shown]
	v_add_u32_e32 v9, 0x2000, v9
	s_andn2_b64 exec, exec, s[16:17]
	s_cbranch_execnz .LBB17_4
; %bb.5:
	s_or_b64 exec, exec, s[16:17]
.LBB17_6:
	s_or_b64 exec, exec, s[12:13]
	v_and_b32_e32 v1, 7, v7
	v_cmp_ne_u32_e32 vcc, 0, v1
	s_and_saveexec_b64 s[12:13], vcc
	s_cbranch_execz .LBB17_9
; %bb.7:
	v_lshlrev_b32_e32 v5, 2, v0
	v_lshl_or_b32 v4, v4, 9, v5
	v_add_u32_e32 v7, 0, v4
	s_mov_b64 s[16:17], 0
	v_mov_b32_e32 v5, 0
.LBB17_8:                               ; =>This Inner Loop Header: Depth=1
	v_mov_b32_e32 v4, v2
	v_lshl_add_u64 v[8:9], v[4:5], 2, s[6:7]
	v_mov_b32_e32 v4, v3
	v_lshl_add_u64 v[10:11], v[4:5], 2, s[6:7]
	global_load_dword v4, v[8:9], off
	global_load_dword v12, v[10:11], off
	v_add_u32_e32 v1, -1, v1
	v_cmp_eq_u32_e32 vcc, 0, v1
	v_add_u32_e32 v2, 0x100, v2
	v_add_u32_e32 v3, 0x100, v3
	s_or_b64 s[16:17], vcc, s[16:17]
	s_waitcnt vmcnt(0)
	ds_write2st64_b32 v7, v4, v12 offset1:2
	v_add_u32_e32 v7, 0x400, v7
	s_andn2_b64 exec, exec, s[16:17]
	s_cbranch_execnz .LBB17_8
.LBB17_9:
	s_or_b64 exec, exec, s[12:13]
	v_add_u32_e32 v1, 1, v6
	v_and_b32_e32 v3, 0x3fffffe, v1
	v_cmp_ne_u32_e32 vcc, v1, v3
	v_lshl_or_b32 v2, v3, 7, v0
	s_orn2_b64 s[6:7], vcc, exec
.LBB17_10:
	s_or_b64 exec, exec, s[4:5]
	s_and_b64 exec, exec, s[6:7]
	s_cbranch_execz .LBB17_13
; %bb.11:
	s_lshl_b64 s[4:5], s[0:1], 3
	s_add_u32 s4, s10, s4
	v_mov_b32_e32 v3, 0
	s_addc_u32 s5, s11, s5
	v_lshl_add_u64 v[4:5], v[2:3], 2, s[4:5]
	v_lshl_add_u32 v1, v2, 2, 0
	s_mov_b64 s[4:5], 0
	s_mov_b64 s[6:7], 0x200
.LBB17_12:                              ; =>This Inner Loop Header: Depth=1
	global_load_dword v3, v[4:5], off
	v_add_u32_e32 v2, 0x80, v2
	v_cmp_le_i32_e32 vcc, s20, v2
	v_lshl_add_u64 v[4:5], v[4:5], 0, s[6:7]
	s_or_b64 s[4:5], vcc, s[4:5]
	s_waitcnt vmcnt(0)
	ds_write_b32 v1, v3
	v_add_u32_e32 v1, 0x200, v1
	s_andn2_b64 exec, exec, s[4:5]
	s_cbranch_execnz .LBB17_12
.LBB17_13:
	s_or_b64 exec, exec, s[2:3]
	v_mov_b32_e32 v1, 0
	s_waitcnt lgkmcnt(0)
	s_barrier
	ds_read_b32 v1, v1
	s_cmp_lt_i32 s19, 2
	s_cbranch_scc1 .LBB17_21
; %bb.14:
	s_add_i32 s1, s19, -1
	s_add_i32 s2, s19, -2
	s_cmp_lt_u32 s2, 7
	s_cbranch_scc1 .LBB17_18
; %bb.15:
	s_mov_b32 s4, 0
	s_add_i32 s2, 0, 8
	s_and_b32 s3, s1, -8
.LBB17_16:                              ; =>This Inner Loop Header: Depth=1
	v_mov_b32_e32 v8, s2
	ds_read2_b32 v[2:3], v8 offset1:2
	ds_read2_b32 v[4:5], v8 offset0:4 offset1:6
	ds_read2_b32 v[6:7], v8 offset0:8 offset1:10
	ds_read2_b32 v[8:9], v8 offset0:12 offset1:14
	s_mov_b32 s5, s4
	s_waitcnt lgkmcnt(3)
	v_max3_f32 v1, v1, v2, v3
	s_waitcnt lgkmcnt(2)
	v_max3_f32 v1, v1, v4, v5
	s_add_i32 s2, s2, 64
	s_add_i32 s4, s4, 8
	s_waitcnt lgkmcnt(1)
	v_max3_f32 v1, v1, v6, v7
	s_cmp_eq_u32 s3, s4
	s_waitcnt lgkmcnt(0)
	v_max3_f32 v1, v1, v8, v9
	s_cbranch_scc0 .LBB17_16
; %bb.17:
	s_add_i32 s2, s5, 9
	s_and_b32 s1, s1, 7
	s_cmp_eq_u32 s1, 0
	s_cbranch_scc0 .LBB17_19
	s_branch .LBB17_21
.LBB17_18:
	s_mov_b32 s2, 1
	s_and_b32 s1, s1, 7
	s_cmp_eq_u32 s1, 0
	s_cbranch_scc1 .LBB17_21
.LBB17_19:
	s_lshl_b32 s2, s2, 3
	s_add_i32 s2, s2, 0
.LBB17_20:                              ; =>This Inner Loop Header: Depth=1
	v_mov_b32_e32 v2, s2
	ds_read_b32 v2, v2
	s_waitcnt lgkmcnt(1)
	v_max_f32_e32 v1, v1, v1
	s_add_i32 s2, s2, 8
	s_add_i32 s1, s1, -1
	s_cmp_lg_u32 s1, 0
	s_waitcnt lgkmcnt(0)
	v_max_f32_e32 v2, v2, v2
	v_max_f32_e32 v1, v1, v2
	s_cbranch_scc1 .LBB17_20
.LBB17_21:
	s_cmp_lt_i32 s19, 1
	s_cbranch_scc1 .LBB17_26
; %bb.22:
	s_lshl_b32 s0, s0, 7
	s_ashr_i32 s1, s0, 31
	s_lshl_b64 s[0:1], s[0:1], 2
	s_add_u32 s16, s8, s0
	s_addc_u32 s17, s9, s1
	s_cmp_lt_u32 s19, 8
	v_mov_b32_e32 v6, 0
	s_cbranch_scc1 .LBB17_27
; %bb.23:
	s_and_b32 s20, s19, 0x7ffffff8
	v_or_b32_e32 v2, 0x380, v0
	s_mov_b32 s21, 0
	v_mov_b32_e32 v5, 0
	s_mov_b32 s22, 0x3fb8aa3b
	s_mov_b32 s23, 0xc2ce8ed0
	;; [unrolled: 1-line block ×3, first 2 shown]
	v_mov_b32_e32 v8, 0x7f800000
	s_mov_b32 s25, 0
	v_mov_b32_e32 v7, 0
	v_mov_b32_e32 v6, 0
.LBB17_24:                              ; =>This Inner Loop Header: Depth=1
	v_add_u32_e32 v4, 0xfffffc80, v2
	v_mov_b32_e32 v9, s21
	v_mov_b32_e32 v3, v5
	v_lshl_add_u64 v[26:27], v[4:5], 2, s[16:17]
	v_add_u32_e32 v4, 0xfffffd00, v2
	ds_read2_b64 v[10:13], v9 offset1:1
	ds_read2_b64 v[14:17], v9 offset0:2 offset1:3
	ds_read2_b64 v[18:21], v9 offset0:4 offset1:5
	;; [unrolled: 1-line block ×3, first 2 shown]
	v_lshl_add_u64 v[28:29], v[2:3], 2, s[16:17]
	v_lshl_add_u64 v[30:31], v[4:5], 2, s[16:17]
	v_add_u32_e32 v4, 0xfffffd80, v2
	global_load_dword v3, v[26:27], off
	global_load_dword v9, v[30:31], off
	s_waitcnt lgkmcnt(3)
	v_sub_f32_e32 v10, v10, v1
	global_load_dword v28, v[28:29], off
	v_lshl_add_u64 v[26:27], v[4:5], 2, s[16:17]
	global_load_dword v32, v[26:27], off
	v_add_u32_e32 v4, 0xfffffe00, v2
	v_lshl_add_u64 v[30:31], v[4:5], 2, s[16:17]
	v_add_u32_e32 v4, 0xfffffe80, v2
	v_lshl_add_u64 v[26:27], v[4:5], 2, s[16:17]
	v_add_u32_e32 v4, 0xffffff00, v2
	global_load_dword v33, v[30:31], off
	global_load_dword v34, v[26:27], off
	v_lshl_add_u64 v[30:31], v[4:5], 2, s[16:17]
	v_add_u32_e32 v4, 0xffffff80, v2
	v_lshl_add_u64 v[26:27], v[4:5], 2, s[16:17]
	global_load_dword v30, v[30:31], off
	v_sub_f32_e32 v12, v12, v1
	global_load_dword v26, v[26:27], off
	v_mul_f32_e32 v35, 0x3fb8aa3b, v10
	v_mul_f32_e32 v36, 0x3fb8aa3b, v12
	s_waitcnt lgkmcnt(2)
	v_sub_f32_e32 v14, v14, v1
	v_sub_f32_e32 v16, v16, v1
	s_waitcnt lgkmcnt(1)
	v_sub_f32_e32 v18, v18, v1
	v_sub_f32_e32 v20, v20, v1
	s_waitcnt lgkmcnt(0)
	v_sub_f32_e32 v22, v22, v1
	v_fma_f32 v31, v10, s22, -v35
	v_rndne_f32_e32 v42, v35
	v_fma_f32 v43, v12, s22, -v36
	v_rndne_f32_e32 v44, v36
	v_mul_f32_e32 v37, 0x3fb8aa3b, v14
	v_mul_f32_e32 v38, 0x3fb8aa3b, v16
	;; [unrolled: 1-line block ×5, first 2 shown]
	v_fmac_f32_e32 v31, 0x32a5705f, v10
	v_sub_f32_e32 v35, v35, v42
	v_fmac_f32_e32 v43, 0x32a5705f, v12
	v_sub_f32_e32 v36, v36, v44
	v_fma_f32 v45, v14, s22, -v37
	v_rndne_f32_e32 v46, v37
	v_fma_f32 v47, v16, s22, -v38
	v_rndne_f32_e32 v48, v38
	;; [unrolled: 2-line block ×4, first 2 shown]
	v_add_f32_e32 v31, v35, v31
	v_fma_f32 v35, v22, s22, -v41
	v_add_f32_e32 v36, v36, v43
	v_rndne_f32_e32 v43, v41
	v_fmac_f32_e32 v45, 0x32a5705f, v14
	v_sub_f32_e32 v37, v37, v46
	v_fmac_f32_e32 v47, 0x32a5705f, v16
	v_sub_f32_e32 v38, v38, v48
	v_cvt_i32_f32_e32 v42, v42
	v_fmac_f32_e32 v49, 0x32a5705f, v18
	v_sub_f32_e32 v39, v39, v50
	v_fmac_f32_e32 v27, 0x32a5705f, v20
	v_sub_f32_e32 v40, v40, v29
	;; [unrolled: 2-line block ×3, first 2 shown]
	v_exp_f32_e32 v31, v31
	v_add_f32_e32 v37, v37, v45
	v_add_f32_e32 v38, v38, v47
	v_cvt_i32_f32_e32 v44, v44
	v_add_f32_e32 v39, v39, v49
	v_add_f32_e32 v27, v40, v27
	;; [unrolled: 1-line block ×3, first 2 shown]
	v_exp_f32_e32 v36, v36
	v_sub_f32_e32 v24, v24, v1
	v_cvt_i32_f32_e32 v46, v46
	v_cvt_i32_f32_e32 v48, v48
	v_cvt_i32_f32_e32 v50, v50
	v_cvt_i32_f32_e32 v29, v29
	v_cvt_i32_f32_e32 v43, v43
	v_exp_f32_e32 v37, v37
	v_exp_f32_e32 v38, v38
	;; [unrolled: 1-line block ×5, first 2 shown]
	v_mul_f32_e32 v4, 0x3fb8aa3b, v24
	v_fma_f32 v45, v24, s22, -v4
	v_rndne_f32_e32 v47, v4
	v_ldexp_f32 v31, v31, v42
	v_cmp_ngt_f32_e64 s[12:13], s23, v10
	v_fmac_f32_e32 v45, 0x32a5705f, v24
	v_sub_f32_e32 v4, v4, v47
	v_ldexp_f32 v36, v36, v44
	v_cmp_ngt_f32_e32 vcc, s23, v12
	v_cndmask_b32_e64 v31, 0, v31, s[12:13]
	v_cmp_nlt_f32_e64 s[12:13], s24, v10
	v_add_f32_e32 v4, v4, v45
	v_ldexp_f32 v37, v37, v46
	v_cmp_ngt_f32_e64 s[0:1], s23, v14
	v_ldexp_f32 v38, v38, v48
	v_cmp_ngt_f32_e64 s[2:3], s23, v16
	;; [unrolled: 2-line block ×5, first 2 shown]
	v_cndmask_b32_e32 v35, 0, v36, vcc
	v_cmp_nlt_f32_e32 vcc, s24, v12
	v_cndmask_b32_e64 v10, v8, v31, s[12:13]
	v_cvt_i32_f32_e32 v47, v47
	v_exp_f32_e32 v4, v4
	v_cndmask_b32_e64 v12, 0, v37, s[0:1]
	v_cmp_nlt_f32_e64 s[0:1], s24, v14
	v_cndmask_b32_e64 v14, 0, v38, s[2:3]
	v_cmp_nlt_f32_e64 s[2:3], s24, v16
	;; [unrolled: 2-line block ×5, first 2 shown]
	v_cndmask_b32_e32 v22, v8, v35, vcc
	v_fmac_f32_e32 v7, v10, v11
	s_waitcnt vmcnt(7)
	v_fmac_f32_e32 v6, v3, v10
	v_cndmask_b32_e64 v12, v8, v12, s[0:1]
	v_fmac_f32_e32 v7, v22, v13
	s_waitcnt vmcnt(6)
	v_fmac_f32_e32 v6, v9, v22
	v_cndmask_b32_e64 v14, v8, v14, s[2:3]
	;; [unrolled: 4-line block ×3, first 2 shown]
	v_fmac_f32_e32 v7, v14, v17
	s_waitcnt vmcnt(3)
	v_fmac_f32_e32 v6, v33, v14
	v_ldexp_f32 v4, v4, v47
	v_cmp_ngt_f32_e64 s[10:11], s23, v24
	v_cndmask_b32_e64 v18, v8, v18, s[6:7]
	v_fmac_f32_e32 v7, v16, v19
	s_waitcnt vmcnt(2)
	v_fmac_f32_e32 v6, v34, v16
	v_cndmask_b32_e64 v4, 0, v4, s[10:11]
	v_cmp_nlt_f32_e64 s[10:11], s24, v24
	v_cndmask_b32_e64 v20, v8, v20, s[8:9]
	v_fmac_f32_e32 v7, v18, v21
	s_waitcnt vmcnt(1)
	v_fmac_f32_e32 v6, v30, v18
	s_add_i32 s25, s25, 8
	s_add_i32 s21, s21, 64
	v_cndmask_b32_e64 v4, v8, v4, s[10:11]
	v_fmac_f32_e32 v7, v20, v23
	s_waitcnt vmcnt(0)
	v_fmac_f32_e32 v6, v26, v20
	s_cmp_eq_u32 s20, s25
	v_add_u32_e32 v2, 0x400, v2
	v_fmac_f32_e32 v7, v4, v25
	v_fmac_f32_e32 v6, v28, v4
	s_cbranch_scc0 .LBB17_24
; %bb.25:
	s_and_b32 s0, s19, 7
	s_cmp_eq_u32 s0, 0
	s_cbranch_scc0 .LBB17_28
	s_branch .LBB17_30
.LBB17_26:
	s_waitcnt lgkmcnt(0)
	v_mov_b32_e32 v1, 0x7fc00000
	s_branch .LBB17_31
.LBB17_27:
	s_mov_b32 s20, 0
	v_mov_b32_e32 v7, 0
	s_and_b32 s0, s19, 7
	s_cmp_eq_u32 s0, 0
	s_cbranch_scc1 .LBB17_30
.LBB17_28:
	s_lshl_b32 s1, s20, 3
	v_lshl_or_b32 v2, s20, 7, v0
	s_add_i32 s1, s1, 0
	s_mov_b32 s2, 0x3fb8aa3b
	s_mov_b32 s3, 0xc2ce8ed0
	s_mov_b32 s4, 0x42b17218
	v_mov_b32_e32 v4, 0x7f800000
	v_mov_b32_e32 v3, 0
.LBB17_29:                              ; =>This Inner Loop Header: Depth=1
	v_lshl_add_u64 v[8:9], v[2:3], 2, s[16:17]
	global_load_dword v5, v[8:9], off
	v_mov_b32_e32 v8, s1
	ds_read_b64 v[8:9], v8
	s_add_i32 s1, s1, 8
	s_add_i32 s0, s0, -1
	v_add_u32_e32 v2, 0x80, v2
	s_cmp_lg_u32 s0, 0
	s_waitcnt lgkmcnt(0)
	v_sub_f32_e32 v8, v8, v1
	v_mul_f32_e32 v10, 0x3fb8aa3b, v8
	v_fma_f32 v11, v8, s2, -v10
	v_rndne_f32_e32 v12, v10
	v_fmac_f32_e32 v11, 0x32a5705f, v8
	v_sub_f32_e32 v10, v10, v12
	v_add_f32_e32 v10, v10, v11
	v_cvt_i32_f32_e32 v12, v12
	v_exp_f32_e32 v10, v10
	v_cmp_ngt_f32_e32 vcc, s3, v8
	v_ldexp_f32 v10, v10, v12
	s_nop 0
	v_cndmask_b32_e32 v10, 0, v10, vcc
	v_cmp_nlt_f32_e32 vcc, s4, v8
	s_nop 1
	v_cndmask_b32_e32 v8, v4, v10, vcc
	v_fmac_f32_e32 v7, v8, v9
	s_waitcnt vmcnt(0)
	v_fmac_f32_e32 v6, v5, v8
	s_cbranch_scc1 .LBB17_29
.LBB17_30:
	s_waitcnt lgkmcnt(0)
	v_div_scale_f32 v1, s[0:1], v7, v7, v6
	v_rcp_f32_e32 v2, v1
	v_div_scale_f32 v3, vcc, v6, v7, v6
	v_fma_f32 v4, -v1, v2, 1.0
	v_fmac_f32_e32 v2, v4, v2
	v_mul_f32_e32 v4, v3, v2
	v_fma_f32 v5, -v1, v4, v3
	v_fmac_f32_e32 v4, v5, v2
	v_fma_f32 v1, -v1, v4, v3
	v_div_fmas_f32 v1, v1, v2, v4
	v_div_fixup_f32 v1, v1, v7, v6
.LBB17_31:
	s_lshl_b32 s0, s18, 7
	s_ashr_i32 s1, s0, 31
	s_lshl_b64 s[0:1], s[0:1], 2
	s_add_u32 s0, s14, s0
	s_addc_u32 s1, s15, s1
	v_lshlrev_b32_e32 v0, 2, v0
	global_store_dword v0, v1, s[0:1]
	s_endpgm
	.section	.rodata,"a",@progbits
	.p2align	6, 0x0
	.amdhsa_kernel _ZL26flash_attn_combine_resultsILi128EEvPKfPK15HIP_vector_typeIfLj2EEPfi
		.amdhsa_group_segment_fixed_size 0
		.amdhsa_private_segment_fixed_size 0
		.amdhsa_kernarg_size 288
		.amdhsa_user_sgpr_count 2
		.amdhsa_user_sgpr_dispatch_ptr 0
		.amdhsa_user_sgpr_queue_ptr 0
		.amdhsa_user_sgpr_kernarg_segment_ptr 1
		.amdhsa_user_sgpr_dispatch_id 0
		.amdhsa_user_sgpr_kernarg_preload_length 0
		.amdhsa_user_sgpr_kernarg_preload_offset 0
		.amdhsa_user_sgpr_private_segment_size 0
		.amdhsa_uses_dynamic_stack 0
		.amdhsa_enable_private_segment 0
		.amdhsa_system_sgpr_workgroup_id_x 1
		.amdhsa_system_sgpr_workgroup_id_y 1
		.amdhsa_system_sgpr_workgroup_id_z 1
		.amdhsa_system_sgpr_workgroup_info 0
		.amdhsa_system_vgpr_workitem_id 0
		.amdhsa_next_free_vgpr 51
		.amdhsa_next_free_sgpr 26
		.amdhsa_accum_offset 52
		.amdhsa_reserve_vcc 1
		.amdhsa_float_round_mode_32 0
		.amdhsa_float_round_mode_16_64 0
		.amdhsa_float_denorm_mode_32 3
		.amdhsa_float_denorm_mode_16_64 3
		.amdhsa_dx10_clamp 1
		.amdhsa_ieee_mode 1
		.amdhsa_fp16_overflow 0
		.amdhsa_tg_split 0
		.amdhsa_exception_fp_ieee_invalid_op 0
		.amdhsa_exception_fp_denorm_src 0
		.amdhsa_exception_fp_ieee_div_zero 0
		.amdhsa_exception_fp_ieee_overflow 0
		.amdhsa_exception_fp_ieee_underflow 0
		.amdhsa_exception_fp_ieee_inexact 0
		.amdhsa_exception_int_div_zero 0
	.end_amdhsa_kernel
	.section	.text._ZL26flash_attn_combine_resultsILi128EEvPKfPK15HIP_vector_typeIfLj2EEPfi,"axG",@progbits,_ZL26flash_attn_combine_resultsILi128EEvPKfPK15HIP_vector_typeIfLj2EEPfi,comdat
.Lfunc_end17:
	.size	_ZL26flash_attn_combine_resultsILi128EEvPKfPK15HIP_vector_typeIfLj2EEPfi, .Lfunc_end17-_ZL26flash_attn_combine_resultsILi128EEvPKfPK15HIP_vector_typeIfLj2EEPfi
                                        ; -- End function
	.section	.AMDGPU.csdata,"",@progbits
; Kernel info:
; codeLenInByte = 2808
; NumSgprs: 32
; NumVgprs: 51
; NumAgprs: 0
; TotalNumVgprs: 51
; ScratchSize: 0
; MemoryBound: 0
; FloatMode: 240
; IeeeMode: 1
; LDSByteSize: 0 bytes/workgroup (compile time only)
; SGPRBlocks: 3
; VGPRBlocks: 6
; NumSGPRsForWavesPerEU: 32
; NumVGPRsForWavesPerEU: 51
; AccumOffset: 52
; Occupancy: 8
; WaveLimiterHint : 0
; COMPUTE_PGM_RSRC2:SCRATCH_EN: 0
; COMPUTE_PGM_RSRC2:USER_SGPR: 2
; COMPUTE_PGM_RSRC2:TRAP_HANDLER: 0
; COMPUTE_PGM_RSRC2:TGID_X_EN: 1
; COMPUTE_PGM_RSRC2:TGID_Y_EN: 1
; COMPUTE_PGM_RSRC2:TGID_Z_EN: 1
; COMPUTE_PGM_RSRC2:TIDIG_COMP_CNT: 0
; COMPUTE_PGM_RSRC3_GFX90A:ACCUM_OFFSET: 12
; COMPUTE_PGM_RSRC3_GFX90A:TG_SPLIT: 0
	.section	.text._ZL18flash_attn_ext_vecILi128ELi1EL9ggml_type2ELS0_30ELb1EEvPKcS2_S2_S2_S2_PKiPfP15HIP_vector_typeIfLj2EEffffjfiS6_IjLj3EEiiiiiiiiiiiliiliiiiil,"axG",@progbits,_ZL18flash_attn_ext_vecILi128ELi1EL9ggml_type2ELS0_30ELb1EEvPKcS2_S2_S2_S2_PKiPfP15HIP_vector_typeIfLj2EEffffjfiS6_IjLj3EEiiiiiiiiiiiliiliiiiil,comdat
	.globl	_ZL18flash_attn_ext_vecILi128ELi1EL9ggml_type2ELS0_30ELb1EEvPKcS2_S2_S2_S2_PKiPfP15HIP_vector_typeIfLj2EEffffjfiS6_IjLj3EEiiiiiiiiiiiliiliiiiil ; -- Begin function _ZL18flash_attn_ext_vecILi128ELi1EL9ggml_type2ELS0_30ELb1EEvPKcS2_S2_S2_S2_PKiPfP15HIP_vector_typeIfLj2EEffffjfiS6_IjLj3EEiiiiiiiiiiiliiliiiiil
	.p2align	8
	.type	_ZL18flash_attn_ext_vecILi128ELi1EL9ggml_type2ELS0_30ELb1EEvPKcS2_S2_S2_S2_PKiPfP15HIP_vector_typeIfLj2EEffffjfiS6_IjLj3EEiiiiiiiiiiiliiliiiiil,@function
_ZL18flash_attn_ext_vecILi128ELi1EL9ggml_type2ELS0_30ELb1EEvPKcS2_S2_S2_S2_PKiPfP15HIP_vector_typeIfLj2EEffffjfiS6_IjLj3EEiiiiiiiiiiiliiliiiiil: ; @_ZL18flash_attn_ext_vecILi128ELi1EL9ggml_type2ELS0_30ELb1EEvPKcS2_S2_S2_S2_PKiPfP15HIP_vector_typeIfLj2EEffffjfiS6_IjLj3EEiiiiiiiiiiiliiliiiiil
; %bb.0:
	s_load_dwordx2 s[34:35], s[0:1], 0x64
	s_load_dwordx2 s[42:43], s[0:1], 0x80
	;; [unrolled: 1-line block ×3, first 2 shown]
	s_load_dwordx4 s[12:15], s[0:1], 0x40
	s_load_dwordx2 s[44:45], s[0:1], 0x50
	v_mov_b32_e32 v58, 1.0
	s_waitcnt lgkmcnt(0)
	v_cvt_f32_u32_e32 v1, s35
	s_sub_i32 s5, 0, s35
	v_rcp_iflag_f32_e32 v1, v1
	s_nop 0
	v_mul_f32_e32 v1, 0x4f7ffffe, v1
	v_cvt_u32_f32_e32 v1, v1
	s_nop 0
	v_readfirstlane_b32 s6, v1
	s_mul_i32 s5, s5, s6
	s_mul_hi_u32 s5, s6, s5
	s_add_i32 s6, s6, s5
	s_mul_hi_u32 s5, s4, s6
	s_mul_i32 s6, s5, s35
	s_sub_i32 s6, s4, s6
	s_add_i32 s7, s5, 1
	s_sub_i32 s8, s6, s35
	s_cmp_ge_u32 s6, s35
	s_cselect_b32 s5, s7, s5
	s_cselect_b32 s6, s8, s6
	s_add_i32 s7, s5, 1
	s_cmp_ge_u32 s6, s35
	s_cselect_b32 s33, s7, s5
	s_abs_i32 s5, s43
	v_cvt_f32_u32_e32 v1, s5
	s_mul_i32 s8, s33, s35
	s_sub_i32 s9, 0, s5
	s_sub_i32 s40, s4, s8
	v_rcp_iflag_f32_e32 v1, v1
	s_abs_i32 s7, s35
	s_xor_b32 s6, s35, s43
	s_ashr_i32 s6, s6, 31
	v_mul_f32_e32 v1, 0x4f7ffffe, v1
	v_cvt_u32_f32_e32 v1, v1
	s_nop 0
	v_readfirstlane_b32 s4, v1
	s_mul_i32 s9, s9, s4
	s_mul_hi_u32 s8, s4, s9
	s_add_i32 s4, s4, s8
	s_mul_hi_u32 s4, s7, s4
	s_mul_i32 s8, s4, s5
	s_sub_i32 s7, s7, s8
	s_add_i32 s9, s4, 1
	s_sub_i32 s8, s7, s5
	s_cmp_ge_u32 s7, s5
	s_cselect_b32 s4, s9, s4
	s_cselect_b32 s7, s8, s7
	s_add_i32 s8, s4, 1
	s_cmp_ge_u32 s7, s5
	s_cselect_b32 s4, s8, s4
	s_xor_b32 s4, s4, s6
	s_sub_i32 s36, s4, s6
	s_abs_i32 s10, s10
	s_abs_i32 s46, s36
	v_cvt_f32_u32_e32 v1, s10
	v_cvt_f32_u32_e32 v2, s46
	s_sub_i32 s4, 0, s10
	s_sub_i32 s5, 0, s46
	v_rcp_iflag_f32_e32 v1, v1
	v_rcp_iflag_f32_e32 v2, v2
	s_abs_i32 s47, s40
	s_abs_i32 s43, s33
	v_mul_f32_e32 v1, 0x4f7ffffe, v1
	v_mul_f32_e32 v2, 0x4f7ffffe, v2
	v_cvt_u32_f32_e32 v1, v1
	v_cvt_u32_f32_e32 v2, v2
	v_readfirstlane_b32 s17, v1
	v_readfirstlane_b32 s16, v2
	s_mul_i32 s4, s4, s17
	s_mul_i32 s5, s5, s16
	s_mul_hi_u32 s5, s16, s5
	s_mul_hi_u32 s4, s17, s4
	s_add_i32 s16, s16, s5
	s_add_i32 s17, s17, s4
	v_cmp_le_f32_e64 s[4:5], s13, 0
	s_and_b64 vcc, exec, s[4:5]
	s_cbranch_vccnz .LBB18_2
; %bb.1:
	s_sub_i32 s4, s40, s44
	s_lshl_b32 s4, s4, 1
	s_add_i32 s6, s40, 1
	s_or_b32 s7, s4, 1
	s_cmp_lt_u32 s40, s44
	s_cselect_b64 vcc, -1, 0
	s_and_b64 s[4:5], vcc, exec
	v_mov_b32_e32 v1, s15
	v_mov_b32_e32 v2, s14
	s_cselect_b32 s4, s6, s7
	v_cndmask_b32_e32 v18, v1, v2, vcc
	v_cvt_f32_i32_e32 v1, s4
	v_cmp_neq_f32_e32 vcc, 1.0, v18
	s_mov_b32 s4, 0x3f2aaaab
	s_movk_i32 s6, 0x204
	v_cndmask_b32_e32 v19, 1.0, v1, vcc
	v_cmp_eq_f32_e32 vcc, 0, v19
	s_mov_b32 s8, 0x42b17218
	s_mov_b32 s7, 0x7f800000
	v_cndmask_b32_e64 v20, |v18|, 1.0, vcc
	v_frexp_mant_f32_e32 v1, v20
	v_cmp_gt_f32_e64 s[4:5], s4, v1
	s_brev_b32 s14, -2
	s_nop 0
	v_cndmask_b32_e64 v2, 1.0, 2.0, s[4:5]
	v_mul_f32_e32 v1, v1, v2
	v_add_f32_e32 v2, 1.0, v1
	v_rcp_f32_e32 v10, v2
	v_add_f32_e32 v3, -1.0, v2
	v_sub_f32_e32 v5, v1, v3
	v_add_f32_e32 v3, -1.0, v1
	v_mul_f32_e32 v1, v3, v10
	v_mul_f32_e32 v4, v2, v1
	v_fma_f32 v6, v1, v2, -v4
	v_fmac_f32_e32 v6, v1, v5
	v_add_f32_e32 v2, v4, v6
	v_sub_f32_e32 v5, v3, v2
	v_pk_add_f32 v[8:9], v[2:3], v[4:5] neg_lo:[0,1] neg_hi:[0,1]
	v_mov_b32_e32 v7, v2
	v_pk_add_f32 v[2:3], v[8:9], v[6:7] neg_lo:[0,1] neg_hi:[0,1]
	v_mov_b32_e32 v6, 0x3e91f4c4
	v_add_f32_e32 v2, v2, v3
	v_add_f32_e32 v2, v5, v2
	v_mul_f32_e32 v3, v10, v2
	v_add_f32_e32 v2, v1, v3
	v_sub_f32_e32 v1, v2, v1
	v_sub_f32_e32 v1, v3, v1
	v_mul_f32_e32 v3, v2, v2
	v_fma_f32 v5, v2, v2, -v3
	v_add_f32_e32 v4, v1, v1
	v_fmac_f32_e32 v5, v2, v4
	v_add_f32_e32 v4, v3, v5
	v_fmac_f32_e32 v6, 0x3e76c4e1, v4
	v_fmaak_f32 v6, v4, v6, 0x3ecccdef
	v_sub_f32_e32 v3, v4, v3
	v_sub_f32_e32 v12, v5, v3
	v_mul_f32_e32 v3, v4, v6
	v_fma_f32 v5, v4, v6, -v3
	v_fmac_f32_e32 v5, v12, v6
	v_add_f32_e32 v6, v3, v5
	v_add_f32_e32 v7, 0x3f2aaaaa, v6
	v_sub_f32_e32 v3, v6, v3
	v_sub_f32_e32 v3, v5, v3
	v_add_f32_e32 v5, 0xbf2aaaaa, v7
	v_add_f32_e32 v3, 0x31739010, v3
	v_sub_f32_e32 v5, v6, v5
	v_pk_mul_f32 v[8:9], v[2:3], v[4:5]
	v_pk_add_f32 v[10:11], v[2:3], v[4:5]
	v_fma_f32 v6, v4, v2, -v8
	v_fmac_f32_e32 v6, v4, v1
	v_mov_b32_e32 v9, v11
	v_fmac_f32_e32 v6, v12, v2
	v_pk_add_f32 v[4:5], v[8:9], v[6:7]
	v_ldexp_f32 v1, v1, 1
	v_sub_f32_e32 v3, v4, v8
	v_sub_f32_e32 v3, v6, v3
	;; [unrolled: 1-line block ×3, first 2 shown]
	v_add_f32_e32 v9, v11, v6
	v_mov_b32_e32 v6, v5
	v_pk_mul_f32 v[6:7], v[4:5], v[6:7]
	v_cvt_f64_f32_e32 v[10:11], v20
	v_frexp_exp_i32_f64_e32 v7, v[10:11]
	v_subbrev_co_u32_e64 v7, s[4:5], 0, v7, s[4:5]
	v_cvt_f32_i32_e32 v7, v7
	v_fma_f32 v8, v4, v5, -v6
	v_fmac_f32_e32 v8, v4, v9
	s_mov_b32 s4, 0x3f317218
	v_mul_f32_e32 v4, 0x3f317218, v7
	v_fmac_f32_e32 v8, v3, v5
	v_fma_f32 v3, v7, s4, -v4
	v_fmamk_f32 v10, v7, 0xb102e308, v3
	v_ldexp_f32 v11, v2, 1
	v_add_f32_e32 v5, v6, v8
	v_pk_add_f32 v[2:3], v[4:5], v[10:11]
	v_mov_b32_e32 v12, v5
	v_mov_b32_e32 v13, v3
	;; [unrolled: 1-line block ×3, first 2 shown]
	v_pk_add_f32 v[6:7], v[12:13], v[6:7] neg_lo:[0,1] neg_hi:[0,1]
	v_mov_b32_e32 v9, v5
	v_pk_add_f32 v[6:7], v[8:9], v[6:7] neg_lo:[0,1] neg_hi:[0,1]
	v_mov_b32_e32 v11, v2
	v_add_f32_e32 v1, v1, v6
	v_add_f32_e32 v5, v1, v7
	v_pk_add_f32 v[6:7], v[2:3], v[4:5] neg_lo:[0,1] neg_hi:[0,1]
	v_pk_add_f32 v[8:9], v[2:3], v[4:5]
	v_mov_b32_e32 v12, v6
	v_mov_b32_e32 v13, v9
	v_pk_add_f32 v[12:13], v[10:11], v[12:13]
	v_pk_add_f32 v[6:7], v[10:11], v[6:7] neg_lo:[0,1] neg_hi:[0,1]
	v_mov_b32_e32 v4, v13
	v_pk_add_f32 v[14:15], v[4:5], v[2:3] neg_lo:[0,1] neg_hi:[0,1]
	v_mov_b32_e32 v12, v9
	v_mov_b32_e32 v1, v14
	v_mov_b32_e32 v2, v3
	v_mov_b32_e32 v3, v14
	v_pk_add_f32 v[16:17], v[8:9], v[0:1] neg_lo:[0,1] neg_hi:[0,1]
	v_pk_add_f32 v[2:3], v[12:13], v[2:3] neg_lo:[0,1] neg_hi:[0,1]
	v_mov_b32_e32 v10, v5
	v_pk_add_f32 v[2:3], v[10:11], v[2:3] neg_lo:[0,1] neg_hi:[0,1]
	v_mov_b32_e32 v16, v6
	v_pk_add_f32 v[8:9], v[16:17], v[2:3]
	v_mov_b32_e32 v7, v13
	v_mov_b32_e32 v10, v9
	v_pk_add_f32 v[10:11], v[8:9], v[10:11]
	s_nop 0
	v_pk_add_f32 v[4:5], v[4:5], v[10:11]
	v_mov_b32_e32 v3, v10
	v_mov_b32_e32 v9, v4
	v_pk_add_f32 v[12:13], v[8:9], v[6:7] neg_lo:[0,1] neg_hi:[0,1]
	s_nop 0
	v_sub_f32_e32 v1, v8, v12
	v_pk_add_f32 v[2:3], v[2:3], v[12:13] neg_lo:[0,1] neg_hi:[0,1]
	v_sub_f32_e32 v1, v6, v1
	v_add_f32_e32 v1, v2, v1
	v_add_f32_e32 v1, v1, v3
	;; [unrolled: 1-line block ×3, first 2 shown]
	v_sub_f32_e32 v3, v2, v4
	v_sub_f32_e32 v1, v1, v3
	v_mul_f32_e32 v3, v19, v2
	v_fma_f32 v2, v19, v2, -v3
	v_fmac_f32_e32 v2, v19, v1
	v_add_f32_e32 v1, v3, v2
	v_cmp_class_f32_e64 s[4:5], v3, s6
	v_sub_f32_e32 v4, v1, v3
	v_sub_f32_e32 v2, v2, v4
	v_cndmask_b32_e64 v1, v1, v3, s[4:5]
	v_mov_b32_e32 v3, 0x37000000
	v_cmp_eq_f32_e64 s[4:5], s8, v1
	s_nop 1
	v_cndmask_b32_e64 v3, 0, v3, s[4:5]
	v_sub_f32_e32 v4, v1, v3
	s_mov_b32 s4, 0x3fb8aa3b
	v_mul_f32_e32 v5, 0x3fb8aa3b, v4
	v_fma_f32 v6, v4, s4, -v5
	v_rndne_f32_e32 v7, v5
	v_fmamk_f32 v6, v4, 0x32a5705f, v6
	v_sub_f32_e32 v5, v5, v7
	v_add_f32_e32 v5, v5, v6
	v_exp_f32_e32 v5, v5
	v_cvt_i32_f32_e32 v6, v7
	v_cmp_neq_f32_e64 s[4:5], |v1|, s7
	s_nop 1
	v_cndmask_b32_e64 v1, 0, v2, s[4:5]
	s_mov_b32 s4, 0xc2ce8ed0
	v_ldexp_f32 v2, v5, v6
	v_cmp_ngt_f32_e64 s[4:5], s4, v4
	v_add_f32_e32 v1, v3, v1
	v_mov_b32_e32 v3, 0x7f800000
	v_cndmask_b32_e64 v2, 0, v2, s[4:5]
	v_cmp_nlt_f32_e64 s[4:5], s8, v4
	v_trunc_f32_e32 v4, v19
	v_mov_b32_e32 v5, 0x7fc00000
	v_cndmask_b32_e64 v2, v3, v2, s[4:5]
	v_fma_f32 v1, v2, v1, v2
	v_cmp_class_f32_e64 s[4:5], v2, s6
	v_cmp_gt_f32_e64 s[8:9], 0, v19
	s_nop 0
	v_cndmask_b32_e64 v1, v1, v2, s[4:5]
	v_cndmask_b32_e64 v2, v18, 1.0, vcc
	v_cmp_eq_f32_e32 vcc, v4, v19
	v_mul_f32_e32 v4, 0.5, v19
	v_trunc_f32_e32 v6, v4
	v_cmp_neq_f32_e64 s[4:5], v6, v4
	s_and_b64 s[4:5], vcc, s[4:5]
	s_nop 0
	v_cndmask_b32_e64 v4, 1.0, v2, s[4:5]
	v_bfi_b32 v1, s14, v1, v4
	v_cndmask_b32_e32 v4, v5, v1, vcc
	v_cmp_gt_f32_e32 vcc, 0, v2
	s_nop 1
	v_cndmask_b32_e32 v1, v1, v4, vcc
	v_cmp_eq_f32_e32 vcc, s7, v20
	v_cmp_eq_f32_e64 s[6:7], 0, v2
	s_xor_b64 s[8:9], s[8:9], s[6:7]
	v_cndmask_b32_e64 v3, v3, 0, s[8:9]
	v_cndmask_b32_e64 v4, 0, v2, s[4:5]
	v_bfi_b32 v3, s14, v3, v4
	s_or_b64 vcc, vcc, s[6:7]
	v_cndmask_b32_e32 v1, v1, v3, vcc
	v_cmp_o_f32_e32 vcc, v2, v2
	s_nop 1
	v_cndmask_b32_e32 v58, v5, v1, vcc
.LBB18_2:
	s_mul_hi_u32 s9, s47, s16
	s_mul_hi_u32 s8, s43, s17
	s_load_dwordx16 s[16:31], s[0:1], 0x0
	v_bfe_u32 v53, v0, 10, 10
	v_and_b32_e32 v54, 0x3ff, v0
	v_cmp_eq_u32_e64 s[14:15], 0, v53
	v_lshlrev_b32_e32 v52, 4, v54
	v_mbcnt_lo_u32_b32 v55, -1, 0
	s_and_saveexec_b64 s[4:5], s[14:15]
	s_cbranch_execz .LBB18_7
; %bb.3:
	s_load_dwordx4 s[48:51], s[0:1], 0x70
	v_mbcnt_hi_u32_b32 v4, -1, v55
	v_and_b32_e32 v5, 0x60, v4
	v_xor_b32_e32 v6, 4, v4
	v_add_u32_e32 v9, 32, v5
	s_waitcnt lgkmcnt(0)
	s_mul_i32 s6, s33, s50
	s_mul_i32 s37, s2, s48
	;; [unrolled: 1-line block ×3, first 2 shown]
	s_add_i32 s6, s6, s37
	s_add_i32 s6, s6, s7
	s_ashr_i32 s7, s6, 31
	s_add_u32 s6, s16, s6
	s_addc_u32 s7, s17, s7
	global_load_dwordx4 v[0:3], v52, s[6:7]
	v_xor_b32_e32 v7, 2, v4
	v_cmp_lt_i32_e32 vcc, v6, v9
	v_xor_b32_e32 v8, 1, v4
	s_nop 0
	v_cndmask_b32_e32 v5, v4, v6, vcc
	v_cmp_lt_i32_e32 vcc, v7, v9
	s_nop 1
	v_cndmask_b32_e32 v6, v4, v7, vcc
	v_lshlrev_b32_e32 v10, 2, v6
	v_lshlrev_b32_e32 v7, 2, v5
	v_cmp_lt_i32_e32 vcc, v8, v9
	s_waitcnt vmcnt(0)
	v_mul_f32_e32 v6, s12, v0
	v_mov_b32_e32 v0, v3
	v_pk_mul_f32 v[0:1], v[0:1], s[12:13] op_sel_hi:[1,0]
	v_max_f32_e64 v3, |v6|, |v6|
	v_mul_f32_e32 v5, s12, v2
	v_max_f32_e64 v3, v3, |v1|
	v_max3_f32 v3, v3, |v5|, |v0|
	ds_bpermute_b32 v11, v7, v3
	v_add_f32_e32 v12, v1, v6
	v_fmac_f32_e32 v12, s12, v2
	v_add_f32_e32 v2, v0, v12
	ds_bpermute_b32 v7, v7, v2
	s_waitcnt lgkmcnt(1)
	v_max_f32_e32 v11, v11, v11
	v_max_f32_e32 v3, v3, v11
	ds_bpermute_b32 v11, v10, v3
	v_cndmask_b32_e32 v4, v4, v8, vcc
	s_waitcnt lgkmcnt(1)
	v_add_f32_e32 v2, v2, v7
	v_lshlrev_b32_e32 v4, 2, v4
	ds_bpermute_b32 v8, v10, v2
	s_waitcnt lgkmcnt(1)
	v_max_f32_e32 v7, v11, v11
	v_max_f32_e32 v9, v3, v7
	ds_bpermute_b32 v10, v4, v9
	s_mov_b32 s12, 0x42fe0000
	s_waitcnt lgkmcnt(1)
	v_add_f32_e32 v3, v2, v8
	ds_bpermute_b32 v4, v4, v3
	v_mov_b32_e32 v7, 0
	s_waitcnt lgkmcnt(1)
	v_max_f32_e32 v2, v10, v10
	v_max_f32_e32 v2, v9, v2
	v_div_scale_f32 v8, s[6:7], s12, s12, v2
	v_rcp_f32_e32 v9, v8
	v_div_scale_f32 v10, vcc, v2, s12, v2
	v_fma_f32 v11, -v8, v9, 1.0
	v_fmac_f32_e32 v9, v11, v9
	v_mul_f32_e32 v11, v10, v9
	v_fma_f32 v12, -v8, v11, v10
	v_fmac_f32_e32 v11, v12, v9
	v_fma_f32 v8, -v8, v11, v10
	v_div_fmas_f32 v8, v8, v9, v11
	v_div_fixup_f32 v2, v8, s12, v2
	v_cmp_neq_f32_e32 vcc, 0, v2
	s_and_saveexec_b64 s[6:7], vcc
	s_cbranch_execz .LBB18_5
; %bb.4:
	v_div_scale_f32 v7, s[12:13], v2, v2, v6
	v_rcp_f32_e32 v8, v7
	v_div_scale_f32 v9, vcc, v6, v2, v6
	s_brev_b32 s16, -2
	v_fma_f32 v10, -v7, v8, 1.0
	v_fmac_f32_e32 v8, v10, v8
	v_mul_f32_e32 v10, v9, v8
	v_fma_f32 v11, -v7, v10, v9
	v_fmac_f32_e32 v10, v11, v8
	v_fma_f32 v7, -v7, v10, v9
	v_div_fmas_f32 v7, v7, v8, v10
	v_div_fixup_f32 v6, v7, v2, v6
	v_trunc_f32_e32 v7, v6
	v_sub_f32_e32 v8, v6, v7
	v_cmp_ge_f32_e64 s[12:13], |v8|, 0.5
	s_nop 1
	v_cndmask_b32_e64 v8, 0, 1.0, s[12:13]
	v_div_scale_f32 v9, s[12:13], v2, v2, v0
	v_rcp_f32_e32 v10, v9
	v_bfi_b32 v6, s16, v8, v6
	v_add_f32_e32 v6, v7, v6
	v_cvt_i32_f32_e32 v6, v6
	v_fma_f32 v7, -v9, v10, 1.0
	v_fmac_f32_e32 v10, v7, v10
	v_div_scale_f32 v7, vcc, v0, v2, v0
	v_mul_f32_e32 v8, v7, v10
	v_fma_f32 v11, -v9, v8, v7
	v_fmac_f32_e32 v8, v11, v10
	v_div_scale_f32 v11, s[12:13], v2, v2, v1
	v_rcp_f32_e32 v12, v11
	v_fma_f32 v7, -v9, v8, v7
	v_div_fmas_f32 v7, v7, v10, v8
	v_div_fixup_f32 v0, v7, v2, v0
	v_fma_f32 v8, -v11, v12, 1.0
	v_fmac_f32_e32 v12, v8, v12
	v_div_scale_f32 v8, vcc, v1, v2, v1
	v_mul_f32_e32 v9, v8, v12
	v_fma_f32 v10, -v11, v9, v8
	v_fmac_f32_e32 v9, v10, v12
	v_div_scale_f32 v10, s[12:13], v2, v2, v5
	v_rcp_f32_e32 v13, v10
	v_fma_f32 v8, -v11, v9, v8
	v_div_fmas_f32 v8, v8, v12, v9
	v_div_fixup_f32 v1, v8, v2, v1
	v_fma_f32 v9, -v10, v13, 1.0
	v_fmac_f32_e32 v13, v9, v13
	v_div_scale_f32 v9, vcc, v5, v2, v5
	v_mul_f32_e32 v11, v9, v13
	v_fma_f32 v12, -v10, v11, v9
	v_fmac_f32_e32 v11, v12, v13
	v_fma_f32 v9, -v10, v11, v9
	v_div_fmas_f32 v9, v9, v13, v11
	v_div_fixup_f32 v5, v9, v2, v5
	v_trunc_f32_e32 v9, v5
	v_sub_f32_e32 v10, v5, v9
	v_trunc_f32_e32 v7, v1
	v_cmp_ge_f32_e64 s[12:13], |v10|, 0.5
	v_sub_f32_e32 v8, v1, v7
	s_nop 0
	v_cndmask_b32_e64 v10, 0, 1.0, s[12:13]
	v_cmp_ge_f32_e64 s[12:13], |v8|, 0.5
	v_bfi_b32 v5, s16, v10, v5
	v_add_f32_e32 v5, v9, v5
	v_cndmask_b32_e64 v8, 0, 1.0, s[12:13]
	v_bfi_b32 v1, s16, v8, v1
	v_add_f32_e32 v1, v7, v1
	v_trunc_f32_e32 v7, v0
	v_sub_f32_e32 v8, v0, v7
	v_cmp_ge_f32_e64 s[12:13], |v8|, 0.5
	v_cvt_i32_f32_e32 v5, v5
	v_cvt_i32_f32_e32 v1, v1
	v_cndmask_b32_e64 v8, 0, 1.0, s[12:13]
	v_bfi_b32 v0, s16, v8, v0
	v_add_f32_e32 v0, v7, v0
	v_cvt_i32_f32_e32 v0, v0
	v_and_b32_e32 v5, 0xff, v5
	v_lshlrev_b32_e32 v5, 16, v5
	v_mov_b32_e32 v7, 8
	v_lshlrev_b32_sdwa v1, v7, v1 dst_sel:DWORD dst_unused:UNUSED_PAD src0_sel:DWORD src1_sel:BYTE_0
	v_lshl_or_b32 v0, v0, 24, v5
	v_and_b32_e32 v5, 0xff, v6
	v_or3_b32 v7, v0, v1, v5
.LBB18_5:
	s_or_b64 exec, exec, s[6:7]
	v_and_b32_e32 v1, 7, v54
	v_lshlrev_b32_e32 v0, 2, v54
	v_cmp_eq_u32_e32 vcc, 0, v1
	ds_write_b32 v0, v7
	s_and_b64 exec, exec, vcc
	s_cbranch_execz .LBB18_7
; %bb.6:
	s_waitcnt lgkmcnt(1)
	v_add_f32_e32 v3, v3, v4
	ds_write_b64 v54, v[2:3] offset:128
.LBB18_7:
	s_or_b64 exec, exec, s[4:5]
	v_and_b32_e32 v16, 3, v54
	v_lshlrev_b32_e32 v14, 2, v16
	v_mov_b32_e32 v50, 0
	s_waitcnt lgkmcnt(0)
	s_barrier
	ds_read2_b32 v[8:9], v14 offset1:4
	ds_read2_b32 v[10:11], v14 offset0:8 offset1:12
	ds_read_b128 v[0:3], v50 offset:128
	ds_read_b128 v[4:7], v50 offset:144
	ds_read2_b32 v[12:13], v14 offset0:16 offset1:20
	ds_read2_b32 v[14:15], v14 offset0:24 offset1:28
	s_ashr_i32 s41, s40, 31
	s_ashr_i32 s4, s36, 31
	;; [unrolled: 1-line block ×3, first 2 shown]
	s_cmp_eq_u64 s[26:27], 0
	s_waitcnt lgkmcnt(0)
	s_barrier
	s_cbranch_scc1 .LBB18_9
; %bb.8:
	s_load_dword s5, s[0:1], 0xd0
	s_mov_b32 s7, 0
	s_waitcnt lgkmcnt(0)
	s_mul_i32 s5, s5, s33
	s_add_i32 s6, s5, s2
	s_lshl_b64 s[6:7], s[6:7], 2
	s_add_u32 s6, s26, s6
	s_addc_u32 s7, s27, s7
	s_load_dword s42, s[6:7], 0x0
.LBB18_9:
	v_lshlrev_b32_e32 v24, 5, v53
	v_add_u32_e32 v56, v24, v54
	s_lshl_b32 s16, s3, 7
	s_mov_b32 s27, 0
	s_waitcnt lgkmcnt(0)
	s_cmp_ge_i32 s16, s42
	v_mov_b32_e32 v76, 0xfeffffff
	v_mov_b32_e32 v69, 0
	v_lshlrev_b32_e32 v59, 2, v54
	v_lshlrev_b32_e32 v57, 1, v56
	v_mov_b32_e32 v70, 0
	v_mov_b32_e32 v71, 0
	;; [unrolled: 1-line block ×7, first 2 shown]
	s_cbranch_scc1 .LBB18_37
; %bb.10:
	s_load_dwordx4 s[36:39], s[0:1], 0x98
	s_load_dwordx2 s[60:61], s[0:1], 0x8c
	s_xor_b32 s4, s41, s4
	s_mul_i32 s8, s8, s10
	v_and_b32_e32 v17, 0x7c, v54
	s_waitcnt lgkmcnt(0)
	s_mul_i32 s6, s33, s37
	s_mul_i32 s7, s44, s36
	s_mul_hi_u32 s5, s33, s36
	s_add_i32 s63, s6, s7
	s_add_i32 s62, s63, s5
	s_mul_i32 s5, s9, s46
	s_sub_i32 s5, s47, s5
	s_add_i32 s6, s9, 1
	s_sub_i32 s7, s5, s46
	s_cmp_ge_u32 s5, s46
	s_cselect_b32 s6, s6, s9
	s_cselect_b32 s5, s7, s5
	s_add_i32 s7, s6, 1
	s_cmp_ge_u32 s5, s46
	s_cselect_b32 s5, s7, s6
	s_xor_b32 s5, s5, s4
	s_sub_i32 s4, s5, s4
	s_mul_i32 s12, s4, s61
	s_mul_i32 s56, s4, s39
	s_sub_i32 s4, s43, s8
	s_ashr_i32 s13, s12, 31
	s_ashr_i32 s57, s56, 31
	s_sub_i32 s5, s4, s10
	s_cmp_ge_u32 s4, s10
	s_cselect_b32 s4, s5, s4
	s_sub_i32 s5, s4, s10
	s_cmp_ge_u32 s4, s10
	s_cselect_b32 s6, s5, s4
	s_load_dwordx2 s[58:59], s[0:1], 0xa8
	s_load_dwordx2 s[4:5], s[0:1], 0xc8
	v_add_u32_e32 v18, v24, v17
	v_mbcnt_hi_u32_b32 v17, -1, v55
	v_and_b32_e32 v19, 0x7c, v17
	v_add_u32_e32 v19, 4, v19
	v_xor_b32_e32 v20, 2, v17
	s_xor_b32 s6, s6, s44
	v_cmp_lt_i32_e32 vcc, v20, v19
	s_sub_i32 s6, s6, s44
	s_load_dword s8, s[0:1], 0xd4
	v_cndmask_b32_e32 v20, v17, v20, vcc
	s_ashr_i32 s7, s6, 31
	s_waitcnt lgkmcnt(0)
	s_mul_i32 s5, s6, s5
	s_mul_hi_u32 s9, s6, s4
	v_lshlrev_b32_e32 v60, 2, v20
	v_xor_b32_e32 v20, 1, v17
	s_add_i32 s5, s9, s5
	s_mul_i32 s7, s7, s4
	s_mul_i32 s66, s2, s11
	v_cmp_lt_i32_e32 vcc, v20, v19
	s_add_i32 s39, s5, s7
	s_ashr_i32 s67, s66, 31
	v_cndmask_b32_e32 v19, v17, v20, vcc
	v_lshlrev_b32_e32 v61, 2, v19
	s_cmp_lg_u64 s[22:23], 0
	v_and_b32_e32 v19, 0x60, v17
	s_mul_i32 s43, s6, s4
	s_cselect_b64 s[48:49], -1, 0
	v_add_u32_e32 v19, 32, v19
	s_lshl_b32 s50, s8, 7
	v_cmp_eq_u32_e64 s[4:5], 3, v16
	v_cmp_eq_u32_e64 s[6:7], 0, v16
	;; [unrolled: 1-line block ×4, first 2 shown]
	v_xor_b32_e32 v16, 4, v17
	v_cmp_lt_i32_e32 vcc, v16, v19
	v_lshrrev_b32_e32 v25, 3, v54
	v_mul_lo_u32 v36, v18, s60
	v_cndmask_b32_e32 v16, v17, v16, vcc
	v_lshlrev_b32_e32 v62, 2, v16
	v_xor_b32_e32 v16, 8, v17
	v_cmp_lt_i32_e32 vcc, v16, v19
	v_add_u32_e32 v32, s60, v36
	v_and_b32_e32 v50, 12, v59
	v_cndmask_b32_e32 v16, v17, v16, vcc
	v_lshlrev_b32_e32 v63, 2, v16
	v_xor_b32_e32 v16, 16, v17
	v_cmp_lt_i32_e32 vcc, v16, v19
	v_mov_b32_e32 v51, 0
	v_add_u32_e32 v26, s60, v32
	v_cndmask_b32_e32 v16, v17, v16, vcc
	v_lshlrev_b32_e32 v64, 2, v16
	v_or_b32_e32 v16, v24, v25
	v_lshlrev_b32_e32 v65, 1, v16
	v_mov_b32_e32 v16, s36
	s_mul_i32 s46, s16, s60
	s_mul_i32 s52, s50, s60
	v_add_u32_e32 v20, s60, v26
	v_mad_u64_u32 v[34:35], s[60:61], s33, v16, v[50:51]
	s_mov_b32 s17, s27
	s_add_u32 s60, s18, s12
	s_addc_u32 s61, s19, s13
	s_lshl_b64 s[64:65], s[16:17], 1
	s_add_u32 s17, s43, s64
	s_mul_i32 s37, s33, s36
	s_addc_u32 s36, s39, s65
	s_add_u32 s22, s22, s66
	s_addc_u32 s23, s23, s67
	s_add_u32 s22, s22, s17
	s_mov_b32 s51, s27
	v_lshlrev_b32_e32 v50, 1, v18
	s_addc_u32 s23, s23, s36
	v_lshl_add_u64 v[18:19], s[22:23], 0, v[50:51]
	s_lshl_b64 s[22:23], s[50:51], 1
	v_and_b32_e32 v28, 7, v54
	s_add_u32 s64, s60, s37
	v_lshlrev_b32_e32 v50, 4, v28
	s_mul_i32 s17, s33, s59
	s_mul_i32 s44, s44, s58
	v_mov_b32_e32 v28, s58
	s_addc_u32 s65, s61, s62
	s_add_i32 s17, s17, s44
	v_mad_u64_u32 v[48:49], s[58:59], s33, v28, v[50:51]
	v_add_u32_e32 v50, v25, v24
	v_add_u32_e32 v49, s17, v49
	v_mul_lo_u32 v24, s38, v50
	v_lshl_add_u64 v[28:29], v[48:49], 0, s[56:57]
	v_ashrrev_i32_e32 v25, 31, v24
	v_lshl_add_u64 v[24:25], v[28:29], 0, v[24:25]
	v_lshl_add_u64 v[24:25], s[20:21], 0, v[24:25]
	s_add_u32 s20, s20, s56
	v_ashrrev_i32_e32 v33, 31, v32
	v_ashrrev_i32_e32 v27, 31, v26
	v_ashrrev_i32_e32 v21, 31, v20
	v_add_u32_e32 v35, s63, v35
	s_addc_u32 s21, s21, s57
	v_lshl_add_u64 v[16:17], v[34:35], 0, v[20:21]
	v_lshl_add_u64 v[22:23], v[34:35], 0, v[26:27]
	;; [unrolled: 1-line block ×4, first 2 shown]
	s_add_u32 s12, s37, s12
	v_add_u32_e32 v30, 4, v50
	s_addc_u32 s13, s62, s13
	v_add_u32_e32 v38, 8, v50
	v_add_u32_e32 v40, 28, v50
	;; [unrolled: 1-line block ×6, first 2 shown]
	v_mul_lo_u32 v30, s38, v30
	s_add_u32 s12, s18, s12
	v_mul_lo_u32 v38, s38, v38
	v_mul_lo_u32 v40, s38, v40
	;; [unrolled: 1-line block ×6, first 2 shown]
	v_ashrrev_i32_e32 v37, 31, v36
	v_ashrrev_i32_e32 v31, 31, v30
	s_addc_u32 s13, s19, s13
	v_ashrrev_i32_e32 v39, 31, v38
	v_ashrrev_i32_e32 v41, 31, v40
	;; [unrolled: 1-line block ×6, first 2 shown]
	v_lshl_add_u64 v[30:31], v[48:49], 0, v[30:31]
	v_lshl_add_u64 v[34:35], v[34:35], 0, v[36:37]
	;; [unrolled: 1-line block ×9, first 2 shown]
                                        ; implicit-def: $vgpr50
                                        ; implicit-def: $vgpr50
	;; [unrolled: 1-line block ×3, first 2 shown]
	s_mul_i32 s26, s16, s38
	s_mov_b32 s47, s27
	s_mov_b32 s53, s27
	s_mul_i32 s54, s50, s38
	s_mov_b32 s55, s27
	v_lshl_add_u64 v[16:17], s[60:61], 0, v[16:17]
	v_lshl_add_u64 v[18:19], v[18:19], 0, 6
	;; [unrolled: 1-line block ×16, first 2 shown]
	v_mov_b32_e32 v77, 0xfeffffff
	s_mov_b32 s17, 0x3f200000
	s_mov_b32 s20, 0x3fb8aa3b
	;; [unrolled: 1-line block ×4, first 2 shown]
	v_mov_b32_e32 v66, 0x3ca908c9
	s_brev_b32 s37, -2
	v_mov_b32_e32 v67, 0x7f800000
	v_mov_b32_e32 v75, v51
	;; [unrolled: 1-line block ×9, first 2 shown]
                                        ; implicit-def: $vgpr68
.LBB18_11:                              ; =>This Inner Loop Header: Depth=1
	v_lshl_add_u64 v[78:79], v[34:35], 0, s[46:47]
	global_load_dword v76, v[78:79], off offset:2
	global_load_dword v80, v[78:79], off offset:20
	;; [unrolled: 1-line block ×4, first 2 shown]
	v_lshl_add_u64 v[78:79], v[36:37], 0, s[46:47]
	global_load_ushort v83, v[78:79], off offset:-54
	global_load_ushort v84, v[78:79], off offset:-36
	;; [unrolled: 1-line block ×3, first 2 shown]
	global_load_ushort v86, v[78:79], off
	v_mov_b32_e32 v78, 0
	v_mov_b32_e32 v79, 0
	;; [unrolled: 1-line block ×8, first 2 shown]
	s_waitcnt vmcnt(7)
	v_and_b32_e32 v93, 0xf0f0f0f, v76
	v_lshrrev_b32_e32 v76, 4, v76
	v_dot4c_i32_i8_e32 v78, v93, v8
	v_and_b32_e32 v76, 0xf0f0f0f, v76
	s_waitcnt vmcnt(6)
	v_and_b32_e32 v94, 0xf0f0f0f, v80
	v_lshrrev_b32_e32 v80, 4, v80
	v_cvt_f32_i32_e32 v78, v78
	v_dot4c_i32_i8_e32 v79, v76, v9
	s_waitcnt vmcnt(4)
	v_and_b32_e32 v96, 0xf0f0f0f, v82
	v_lshrrev_b32_e32 v82, 4, v82
	v_dot4c_i32_i8_e32 v87, v94, v10
	v_and_b32_e32 v80, 0xf0f0f0f, v80
	v_cvt_f32_i32_e32 v79, v79
	v_and_b32_e32 v95, 0xf0f0f0f, v81
	v_lshrrev_b32_e32 v81, 4, v81
	v_and_b32_e32 v82, 0xf0f0f0f, v82
	v_cvt_f32_i32_e32 v76, v87
	v_dot4c_i32_i8_e32 v88, v80, v11
	v_dot4c_i32_i8_e32 v89, v95, v12
	v_and_b32_e32 v81, 0xf0f0f0f, v81
	v_dot4c_i32_i8_e32 v92, v82, v15
	v_cvt_f32_i32_e32 v82, v88
	v_cvt_f32_i32_e32 v80, v89
	v_dot4c_i32_i8_e32 v90, v81, v13
	v_fma_f32 v78, v0, v78, -v1
	v_dot4c_i32_i8_e32 v91, v96, v14
	s_waitcnt vmcnt(3)
	v_fma_mix_f32 v78, v78, v83, 0 op_sel_hi:[0,1,0]
	v_cvt_f32_i32_e32 v87, v90
	v_fma_f32 v79, v0, v79, -v1
	v_cvt_f32_i32_e32 v81, v91
	v_fma_f32 v76, v2, v76, -v3
	v_fma_mix_f32 v78, v79, v83, v78 op_sel_hi:[0,1,0]
	v_cvt_f32_i32_e32 v88, v92
	v_fma_f32 v82, v2, v82, -v3
	s_waitcnt vmcnt(2)
	v_fma_mix_f32 v76, v76, v84, v78 op_sel_hi:[0,1,0]
	v_fma_f32 v80, v4, v80, -v5
	v_fma_mix_f32 v76, v82, v84, v76 op_sel_hi:[0,1,0]
	v_fma_f32 v87, v4, v87, -v5
	s_waitcnt vmcnt(1)
	v_fma_mix_f32 v76, v80, v85, v76 op_sel_hi:[0,1,0]
	v_fma_f32 v81, v6, v81, -v7
	v_fma_mix_f32 v76, v87, v85, v76 op_sel_hi:[0,1,0]
	s_waitcnt vmcnt(0)
	v_fma_mix_f32 v76, v81, v86, v76 op_sel_hi:[0,1,0]
	v_fma_f32 v78, v6, v88, -v7
	v_fma_mix_f32 v76, v78, v86, v76 op_sel_hi:[0,1,0]
	ds_bpermute_b32 v78, v60, v76
	s_waitcnt lgkmcnt(0)
	v_add_f32_e32 v76, v76, v78
	ds_bpermute_b32 v78, v61, v76
	s_waitcnt lgkmcnt(0)
	v_add_f32_e32 v76, v76, v78
	v_cmp_nlt_f32_e64 s[12:13], |v76|, s17
                                        ; implicit-def: $vgpr78
	s_and_saveexec_b64 s[18:19], s[12:13]
	s_xor_b64 s[12:13], exec, s[18:19]
	s_cbranch_execz .LBB18_13
; %bb.12:                               ;   in Loop: Header=BB18_11 Depth=1
	v_add_f32_e64 v78, |v76|, |v76|
	v_mul_f32_e32 v79, 0x3fb8aa3b, v78
	v_rndne_f32_e32 v80, v79
	v_sub_f32_e32 v81, v79, v80
	v_fma_f32 v79, v78, s20, -v79
	v_fmac_f32_e32 v79, 0x32a5705f, v78
	v_add_f32_e32 v79, v81, v79
	v_cvt_i32_f32_e32 v80, v80
	v_exp_f32_e32 v79, v79
	v_cmp_ngt_f32_e32 vcc, s21, v78
	v_ldexp_f32 v79, v79, v80
	s_nop 0
	v_cndmask_b32_e32 v79, 0, v79, vcc
	v_cmp_nlt_f32_e32 vcc, s36, v78
	s_nop 1
	v_cndmask_b32_e32 v78, v67, v79, vcc
	v_add_f32_e32 v78, 1.0, v78
	v_rcp_f32_e32 v78, v78
	s_nop 0
	v_fma_f32 v78, v78, -2.0, 1.0
.LBB18_13:                              ;   in Loop: Header=BB18_11 Depth=1
	s_andn2_saveexec_b64 s[12:13], s[12:13]
; %bb.14:                               ;   in Loop: Header=BB18_11 Depth=1
	v_mul_f32_e32 v78, v76, v76
	v_fmamk_f32 v79, v78, 0xbbbac73d, v66
	v_fmaak_f32 v79, v78, v79, 0xbd5c1c4e
	v_fmaak_f32 v79, v78, v79, 0x3e088382
	;; [unrolled: 1-line block ×3, first 2 shown]
	v_mul_f32_e64 v79, |v76|, v79
	v_fma_f32 v78, v78, v79, |v76|
; %bb.15:                               ;   in Loop: Header=BB18_11 Depth=1
	s_or_b64 exec, exec, s[12:13]
	v_bfi_b32 v76, s37, v78, v76
	v_cndmask_b32_e64 v78, 0, 1, s[48:49]
	v_cmp_ne_u32_e64 s[12:13], 1, v78
	s_andn2_b64 vcc, exec, s[48:49]
	v_mul_f32_e32 v76, s45, v76
	s_cbranch_vccnz .LBB18_17
; %bb.16:                               ;   in Loop: Header=BB18_11 Depth=1
	global_load_ushort v78, v[18:19], off offset:-6
	s_waitcnt vmcnt(0)
	v_fma_mix_f32 v76, v58, v78, v76 op_sel_hi:[0,1,0]
.LBB18_17:                              ;   in Loop: Header=BB18_11 Depth=1
	v_lshl_add_u64 v[78:79], v[28:29], 0, s[46:47]
	global_load_dword v80, v[78:79], off offset:2
	global_load_dword v81, v[78:79], off offset:20
	;; [unrolled: 1-line block ×4, first 2 shown]
	v_lshl_add_u64 v[78:79], v[32:33], 0, s[46:47]
	global_load_ushort v84, v[78:79], off
	global_load_ushort v85, v[78:79], off offset:18
	global_load_ushort v86, v[78:79], off offset:36
	;; [unrolled: 1-line block ×3, first 2 shown]
	v_mov_b32_e32 v78, 0
	v_mov_b32_e32 v79, 0
	;; [unrolled: 1-line block ×8, first 2 shown]
	s_waitcnt vmcnt(7)
	v_and_b32_e32 v94, 0xf0f0f0f, v80
	v_lshrrev_b32_e32 v80, 4, v80
	v_dot4c_i32_i8_e32 v78, v94, v8
	v_and_b32_e32 v80, 0xf0f0f0f, v80
	s_waitcnt vmcnt(6)
	v_and_b32_e32 v95, 0xf0f0f0f, v81
	v_lshrrev_b32_e32 v81, 4, v81
	v_cvt_f32_i32_e32 v78, v78
	v_dot4c_i32_i8_e32 v79, v80, v9
	s_waitcnt vmcnt(4)
	v_and_b32_e32 v97, 0xf0f0f0f, v83
	v_lshrrev_b32_e32 v83, 4, v83
	v_dot4c_i32_i8_e32 v88, v95, v10
	v_and_b32_e32 v81, 0xf0f0f0f, v81
	v_cvt_f32_i32_e32 v79, v79
	v_and_b32_e32 v96, 0xf0f0f0f, v82
	v_lshrrev_b32_e32 v82, 4, v82
	v_and_b32_e32 v83, 0xf0f0f0f, v83
	v_cvt_f32_i32_e32 v80, v88
	v_dot4c_i32_i8_e32 v89, v81, v11
	v_dot4c_i32_i8_e32 v90, v96, v12
	v_and_b32_e32 v82, 0xf0f0f0f, v82
	v_dot4c_i32_i8_e32 v93, v83, v15
	v_cvt_f32_i32_e32 v83, v89
	v_cvt_f32_i32_e32 v81, v90
	v_dot4c_i32_i8_e32 v91, v82, v13
	v_fma_f32 v78, v0, v78, -v1
	v_dot4c_i32_i8_e32 v92, v97, v14
	s_waitcnt vmcnt(3)
	v_fma_mix_f32 v78, v78, v84, 0 op_sel_hi:[0,1,0]
	v_cvt_f32_i32_e32 v88, v91
	v_fma_f32 v79, v0, v79, -v1
	v_cvt_f32_i32_e32 v82, v92
	v_fma_f32 v80, v2, v80, -v3
	v_fma_mix_f32 v78, v79, v84, v78 op_sel_hi:[0,1,0]
	v_cvt_f32_i32_e32 v89, v93
	v_fma_f32 v83, v2, v83, -v3
	s_waitcnt vmcnt(2)
	v_fma_mix_f32 v78, v80, v85, v78 op_sel_hi:[0,1,0]
	v_fma_f32 v81, v4, v81, -v5
	v_fma_mix_f32 v78, v83, v85, v78 op_sel_hi:[0,1,0]
	v_fma_f32 v88, v4, v88, -v5
	s_waitcnt vmcnt(1)
	v_fma_mix_f32 v78, v81, v86, v78 op_sel_hi:[0,1,0]
	v_fma_f32 v82, v6, v82, -v7
	v_fma_mix_f32 v78, v88, v86, v78 op_sel_hi:[0,1,0]
	s_waitcnt vmcnt(0)
	v_fma_mix_f32 v78, v82, v87, v78 op_sel_hi:[0,1,0]
	v_fma_f32 v79, v6, v89, -v7
	v_fma_mix_f32 v78, v79, v87, v78 op_sel_hi:[0,1,0]
	ds_bpermute_b32 v79, v60, v78
	s_waitcnt lgkmcnt(0)
	v_add_f32_e32 v78, v78, v79
	ds_bpermute_b32 v79, v61, v78
	s_waitcnt lgkmcnt(0)
	v_add_f32_e32 v78, v78, v79
	v_cmp_nlt_f32_e64 s[18:19], |v78|, s17
                                        ; implicit-def: $vgpr79
	s_and_saveexec_b64 s[38:39], s[18:19]
	s_xor_b64 s[18:19], exec, s[38:39]
	s_cbranch_execz .LBB18_19
; %bb.18:                               ;   in Loop: Header=BB18_11 Depth=1
	v_add_f32_e64 v79, |v78|, |v78|
	v_mul_f32_e32 v80, 0x3fb8aa3b, v79
	v_rndne_f32_e32 v81, v80
	v_sub_f32_e32 v82, v80, v81
	v_fma_f32 v80, v79, s20, -v80
	v_fmac_f32_e32 v80, 0x32a5705f, v79
	v_add_f32_e32 v80, v82, v80
	v_cvt_i32_f32_e32 v81, v81
	v_exp_f32_e32 v80, v80
	v_cmp_ngt_f32_e32 vcc, s21, v79
	v_ldexp_f32 v80, v80, v81
	s_nop 0
	v_cndmask_b32_e32 v80, 0, v80, vcc
	v_cmp_nlt_f32_e32 vcc, s36, v79
	s_nop 1
	v_cndmask_b32_e32 v79, v67, v80, vcc
	v_add_f32_e32 v79, 1.0, v79
	v_rcp_f32_e32 v79, v79
	s_nop 0
	v_fma_f32 v79, v79, -2.0, 1.0
.LBB18_19:                              ;   in Loop: Header=BB18_11 Depth=1
	s_andn2_saveexec_b64 s[18:19], s[18:19]
; %bb.20:                               ;   in Loop: Header=BB18_11 Depth=1
	v_mul_f32_e32 v79, v78, v78
	v_fmamk_f32 v80, v79, 0xbbbac73d, v66
	v_fmaak_f32 v80, v79, v80, 0xbd5c1c4e
	v_fmaak_f32 v80, v79, v80, 0x3e088382
	;; [unrolled: 1-line block ×3, first 2 shown]
	v_mul_f32_e64 v80, |v78|, v80
	v_fma_f32 v79, v79, v80, |v78|
; %bb.21:                               ;   in Loop: Header=BB18_11 Depth=1
	s_or_b64 exec, exec, s[18:19]
	v_bfi_b32 v78, s37, v79, v78
	s_and_b64 vcc, exec, s[12:13]
	v_mul_f32_e32 v78, s45, v78
	s_cbranch_vccnz .LBB18_23
; %bb.22:                               ;   in Loop: Header=BB18_11 Depth=1
	global_load_ushort v79, v[18:19], off offset:-4
	s_waitcnt vmcnt(0)
	v_fma_mix_f32 v78, v58, v79, v78 op_sel_hi:[0,1,0]
.LBB18_23:                              ;   in Loop: Header=BB18_11 Depth=1
	v_lshl_add_u64 v[80:81], v[22:23], 0, s[46:47]
	global_load_dword v79, v[80:81], off offset:2
	global_load_dword v82, v[80:81], off offset:20
	;; [unrolled: 1-line block ×4, first 2 shown]
	v_lshl_add_u64 v[80:81], v[26:27], 0, s[46:47]
	global_load_ushort v85, v[80:81], off
	global_load_ushort v86, v[80:81], off offset:18
	global_load_ushort v87, v[80:81], off offset:36
	;; [unrolled: 1-line block ×3, first 2 shown]
	v_mov_b32_e32 v80, 0
	v_mov_b32_e32 v81, 0
	;; [unrolled: 1-line block ×8, first 2 shown]
	s_waitcnt vmcnt(7)
	v_and_b32_e32 v95, 0xf0f0f0f, v79
	v_lshrrev_b32_e32 v79, 4, v79
	v_dot4c_i32_i8_e32 v80, v95, v8
	v_and_b32_e32 v79, 0xf0f0f0f, v79
	s_waitcnt vmcnt(6)
	v_and_b32_e32 v96, 0xf0f0f0f, v82
	v_lshrrev_b32_e32 v82, 4, v82
	v_cvt_f32_i32_e32 v80, v80
	v_dot4c_i32_i8_e32 v81, v79, v9
	s_waitcnt vmcnt(4)
	v_and_b32_e32 v98, 0xf0f0f0f, v84
	v_lshrrev_b32_e32 v84, 4, v84
	v_dot4c_i32_i8_e32 v89, v96, v10
	v_and_b32_e32 v82, 0xf0f0f0f, v82
	v_cvt_f32_i32_e32 v81, v81
	v_and_b32_e32 v97, 0xf0f0f0f, v83
	v_lshrrev_b32_e32 v83, 4, v83
	v_and_b32_e32 v84, 0xf0f0f0f, v84
	v_cvt_f32_i32_e32 v79, v89
	v_dot4c_i32_i8_e32 v90, v82, v11
	v_dot4c_i32_i8_e32 v91, v97, v12
	v_and_b32_e32 v83, 0xf0f0f0f, v83
	v_dot4c_i32_i8_e32 v94, v84, v15
	v_cvt_f32_i32_e32 v84, v90
	v_cvt_f32_i32_e32 v82, v91
	v_dot4c_i32_i8_e32 v92, v83, v13
	v_fma_f32 v80, v0, v80, -v1
	v_dot4c_i32_i8_e32 v93, v98, v14
	s_waitcnt vmcnt(3)
	v_fma_mix_f32 v80, v80, v85, 0 op_sel_hi:[0,1,0]
	v_cvt_f32_i32_e32 v89, v92
	v_fma_f32 v81, v0, v81, -v1
	v_cvt_f32_i32_e32 v83, v93
	v_fma_f32 v79, v2, v79, -v3
	v_fma_mix_f32 v80, v81, v85, v80 op_sel_hi:[0,1,0]
	v_cvt_f32_i32_e32 v90, v94
	v_fma_f32 v84, v2, v84, -v3
	s_waitcnt vmcnt(2)
	v_fma_mix_f32 v79, v79, v86, v80 op_sel_hi:[0,1,0]
	v_fma_f32 v82, v4, v82, -v5
	v_fma_mix_f32 v79, v84, v86, v79 op_sel_hi:[0,1,0]
	v_fma_f32 v89, v4, v89, -v5
	s_waitcnt vmcnt(1)
	v_fma_mix_f32 v79, v82, v87, v79 op_sel_hi:[0,1,0]
	v_fma_f32 v83, v6, v83, -v7
	v_fma_mix_f32 v79, v89, v87, v79 op_sel_hi:[0,1,0]
	s_waitcnt vmcnt(0)
	v_fma_mix_f32 v79, v83, v88, v79 op_sel_hi:[0,1,0]
	v_fma_f32 v80, v6, v90, -v7
	v_fma_mix_f32 v79, v80, v88, v79 op_sel_hi:[0,1,0]
	ds_bpermute_b32 v80, v60, v79
	s_waitcnt lgkmcnt(0)
	v_add_f32_e32 v79, v79, v80
	ds_bpermute_b32 v80, v61, v79
	s_waitcnt lgkmcnt(0)
	v_add_f32_e32 v79, v79, v80
	v_cmp_nlt_f32_e64 s[18:19], |v79|, s17
                                        ; implicit-def: $vgpr80
	s_and_saveexec_b64 s[38:39], s[18:19]
	s_xor_b64 s[18:19], exec, s[38:39]
	s_cbranch_execz .LBB18_25
; %bb.24:                               ;   in Loop: Header=BB18_11 Depth=1
	v_add_f32_e64 v80, |v79|, |v79|
	v_mul_f32_e32 v81, 0x3fb8aa3b, v80
	v_rndne_f32_e32 v82, v81
	v_sub_f32_e32 v83, v81, v82
	v_fma_f32 v81, v80, s20, -v81
	v_fmac_f32_e32 v81, 0x32a5705f, v80
	v_add_f32_e32 v81, v83, v81
	v_cvt_i32_f32_e32 v82, v82
	v_exp_f32_e32 v81, v81
	v_cmp_ngt_f32_e32 vcc, s21, v80
	v_ldexp_f32 v81, v81, v82
	s_nop 0
	v_cndmask_b32_e32 v81, 0, v81, vcc
	v_cmp_nlt_f32_e32 vcc, s36, v80
	s_nop 1
	v_cndmask_b32_e32 v80, v67, v81, vcc
	v_add_f32_e32 v80, 1.0, v80
	v_rcp_f32_e32 v80, v80
	s_nop 0
	v_fma_f32 v80, v80, -2.0, 1.0
.LBB18_25:                              ;   in Loop: Header=BB18_11 Depth=1
	s_andn2_saveexec_b64 s[18:19], s[18:19]
; %bb.26:                               ;   in Loop: Header=BB18_11 Depth=1
	v_mul_f32_e32 v80, v79, v79
	v_fmamk_f32 v81, v80, 0xbbbac73d, v66
	v_fmaak_f32 v81, v80, v81, 0xbd5c1c4e
	v_fmaak_f32 v81, v80, v81, 0x3e088382
	v_fmaak_f32 v81, v80, v81, 0xbeaaaa99
	v_mul_f32_e64 v81, |v79|, v81
	v_fma_f32 v80, v80, v81, |v79|
; %bb.27:                               ;   in Loop: Header=BB18_11 Depth=1
	s_or_b64 exec, exec, s[18:19]
	v_bfi_b32 v79, s37, v80, v79
	s_and_b64 vcc, exec, s[12:13]
	v_mul_f32_e32 v79, s45, v79
	s_cbranch_vccnz .LBB18_29
; %bb.28:                               ;   in Loop: Header=BB18_11 Depth=1
	global_load_ushort v80, v[18:19], off offset:-2
	s_waitcnt vmcnt(0)
	v_fma_mix_f32 v79, v58, v80, v79 op_sel_hi:[0,1,0]
.LBB18_29:                              ;   in Loop: Header=BB18_11 Depth=1
	v_lshl_add_u64 v[80:81], v[16:17], 0, s[46:47]
	global_load_dword v82, v[80:81], off offset:2
	global_load_dword v83, v[80:81], off offset:20
	;; [unrolled: 1-line block ×4, first 2 shown]
	v_lshl_add_u64 v[80:81], v[20:21], 0, s[46:47]
	global_load_ushort v86, v[80:81], off
	global_load_ushort v87, v[80:81], off offset:18
	global_load_ushort v88, v[80:81], off offset:36
	;; [unrolled: 1-line block ×3, first 2 shown]
	v_mov_b32_e32 v80, 0
	v_mov_b32_e32 v81, 0
	;; [unrolled: 1-line block ×8, first 2 shown]
	s_waitcnt vmcnt(7)
	v_and_b32_e32 v96, 0xf0f0f0f, v82
	v_lshrrev_b32_e32 v82, 4, v82
	v_dot4c_i32_i8_e32 v80, v96, v8
	v_and_b32_e32 v82, 0xf0f0f0f, v82
	s_waitcnt vmcnt(6)
	v_and_b32_e32 v97, 0xf0f0f0f, v83
	v_lshrrev_b32_e32 v83, 4, v83
	v_cvt_f32_i32_e32 v80, v80
	v_dot4c_i32_i8_e32 v81, v82, v9
	s_waitcnt vmcnt(4)
	v_and_b32_e32 v99, 0xf0f0f0f, v85
	v_lshrrev_b32_e32 v85, 4, v85
	v_dot4c_i32_i8_e32 v90, v97, v10
	v_and_b32_e32 v83, 0xf0f0f0f, v83
	v_cvt_f32_i32_e32 v81, v81
	v_and_b32_e32 v98, 0xf0f0f0f, v84
	v_lshrrev_b32_e32 v84, 4, v84
	v_and_b32_e32 v85, 0xf0f0f0f, v85
	v_cvt_f32_i32_e32 v82, v90
	v_dot4c_i32_i8_e32 v91, v83, v11
	v_dot4c_i32_i8_e32 v92, v98, v12
	v_and_b32_e32 v84, 0xf0f0f0f, v84
	v_dot4c_i32_i8_e32 v95, v85, v15
	v_cvt_f32_i32_e32 v85, v91
	v_cvt_f32_i32_e32 v83, v92
	v_dot4c_i32_i8_e32 v93, v84, v13
	v_fma_f32 v80, v0, v80, -v1
	v_dot4c_i32_i8_e32 v94, v99, v14
	s_waitcnt vmcnt(3)
	v_fma_mix_f32 v80, v80, v86, 0 op_sel_hi:[0,1,0]
	v_cvt_f32_i32_e32 v90, v93
	v_fma_f32 v81, v0, v81, -v1
	v_cvt_f32_i32_e32 v84, v94
	v_fma_f32 v82, v2, v82, -v3
	v_fma_mix_f32 v80, v81, v86, v80 op_sel_hi:[0,1,0]
	v_cvt_f32_i32_e32 v91, v95
	v_fma_f32 v85, v2, v85, -v3
	s_waitcnt vmcnt(2)
	v_fma_mix_f32 v80, v82, v87, v80 op_sel_hi:[0,1,0]
	v_fma_f32 v83, v4, v83, -v5
	v_fma_mix_f32 v80, v85, v87, v80 op_sel_hi:[0,1,0]
	v_fma_f32 v90, v4, v90, -v5
	s_waitcnt vmcnt(1)
	v_fma_mix_f32 v80, v83, v88, v80 op_sel_hi:[0,1,0]
	v_fma_f32 v84, v6, v84, -v7
	v_fma_mix_f32 v80, v90, v88, v80 op_sel_hi:[0,1,0]
	s_waitcnt vmcnt(0)
	v_fma_mix_f32 v80, v84, v89, v80 op_sel_hi:[0,1,0]
	v_fma_f32 v81, v6, v91, -v7
	v_fma_mix_f32 v80, v81, v89, v80 op_sel_hi:[0,1,0]
	ds_bpermute_b32 v81, v60, v80
	s_waitcnt lgkmcnt(0)
	v_add_f32_e32 v80, v80, v81
	ds_bpermute_b32 v81, v61, v80
	s_waitcnt lgkmcnt(0)
	v_add_f32_e32 v80, v80, v81
	v_cmp_nlt_f32_e64 s[18:19], |v80|, s17
                                        ; implicit-def: $vgpr81
	s_and_saveexec_b64 s[38:39], s[18:19]
	s_xor_b64 s[18:19], exec, s[38:39]
	s_cbranch_execz .LBB18_31
; %bb.30:                               ;   in Loop: Header=BB18_11 Depth=1
	v_add_f32_e64 v81, |v80|, |v80|
	v_mul_f32_e32 v82, 0x3fb8aa3b, v81
	v_rndne_f32_e32 v83, v82
	v_sub_f32_e32 v84, v82, v83
	v_fma_f32 v82, v81, s20, -v82
	v_fmac_f32_e32 v82, 0x32a5705f, v81
	v_add_f32_e32 v82, v84, v82
	v_cvt_i32_f32_e32 v83, v83
	v_exp_f32_e32 v82, v82
	v_cmp_ngt_f32_e32 vcc, s21, v81
	v_ldexp_f32 v82, v82, v83
	s_nop 0
	v_cndmask_b32_e32 v82, 0, v82, vcc
	v_cmp_nlt_f32_e32 vcc, s36, v81
	s_nop 1
	v_cndmask_b32_e32 v81, v67, v82, vcc
	v_add_f32_e32 v81, 1.0, v81
	v_rcp_f32_e32 v81, v81
	s_nop 0
	v_fma_f32 v81, v81, -2.0, 1.0
.LBB18_31:                              ;   in Loop: Header=BB18_11 Depth=1
	s_andn2_saveexec_b64 s[18:19], s[18:19]
; %bb.32:                               ;   in Loop: Header=BB18_11 Depth=1
	v_mul_f32_e32 v81, v80, v80
	v_fmamk_f32 v82, v81, 0xbbbac73d, v66
	v_fmaak_f32 v82, v81, v82, 0xbd5c1c4e
	v_fmaak_f32 v82, v81, v82, 0x3e088382
	;; [unrolled: 1-line block ×3, first 2 shown]
	v_mul_f32_e64 v82, |v80|, v82
	v_fma_f32 v81, v81, v82, |v80|
; %bb.33:                               ;   in Loop: Header=BB18_11 Depth=1
	s_or_b64 exec, exec, s[18:19]
	v_bfi_b32 v80, s37, v81, v80
	s_and_b64 vcc, exec, s[12:13]
	v_mul_f32_e32 v80, s45, v80
	s_cbranch_vccnz .LBB18_35
; %bb.34:                               ;   in Loop: Header=BB18_11 Depth=1
	global_load_ushort v81, v[18:19], off
	s_waitcnt vmcnt(0)
	v_fma_mix_f32 v80, v58, v81, v80 op_sel_hi:[0,1,0]
.LBB18_35:                              ;   in Loop: Header=BB18_11 Depth=1
	v_add_f32_e32 v81, 0x40051340, v76
	v_add_f32_e32 v88, 0x40051340, v78
	;; [unrolled: 1-line block ×4, first 2 shown]
	v_max3_f32 v81, v77, v81, v88
	v_max3_f32 v81, v81, v89, v90
	ds_bpermute_b32 v88, v62, v81
	v_lshl_add_u64 v[86:87], v[24:25], 0, s[26:27]
	global_load_dwordx4 v[82:85], v[86:87], off
	v_cndmask_b32_e64 v68, v68, v76, s[6:7]
	v_cndmask_b32_e64 v68, v68, v78, s[8:9]
	s_waitcnt lgkmcnt(0)
	v_max_f32_e32 v88, v88, v88
	v_max_f32_e32 v81, v81, v88
	ds_bpermute_b32 v90, v63, v81
	global_load_dwordx4 v[86:89], v[86:87], off offset:128
	v_cndmask_b32_e64 v68, v68, v79, s[10:11]
	v_cndmask_b32_e64 v68, v68, v80, s[4:5]
	v_lshl_add_u64 v[98:99], v[30:31], 0, s[26:27]
	s_waitcnt lgkmcnt(0)
	v_max_f32_e32 v76, v90, v90
	v_max_f32_e32 v76, v81, v76
	ds_bpermute_b32 v81, v64, v76
	s_add_i32 s16, s16, s50
	v_lshl_add_u64 v[16:17], v[16:17], 0, s[52:53]
	v_lshl_add_u64 v[18:19], v[18:19], 0, s[22:23]
	;; [unrolled: 1-line block ×3, first 2 shown]
	s_waitcnt lgkmcnt(0)
	v_max_f32_e32 v78, v81, v81
	v_max_f32_e32 v76, v76, v78
	v_sub_f32_e32 v68, v68, v76
	v_mul_f32_e32 v79, 0x3fb8aa3b, v68
	v_fma_f32 v90, v68, s20, -v79
	v_rndne_f32_e32 v91, v79
	v_fmac_f32_e32 v90, 0x32a5705f, v68
	v_sub_f32_e32 v79, v79, v91
	v_cvt_i32_f32_e32 v100, v91
	v_add_f32_e32 v79, v79, v90
	global_load_dwordx4 v[90:93], v[98:99], off
	global_load_dwordx4 v[94:97], v[98:99], off offset:128
	v_sub_f32_e32 v77, v77, v76
	v_mul_f32_e32 v78, 0x3fb8aa3b, v77
	v_fma_f32 v80, v77, s20, -v78
	v_rndne_f32_e32 v81, v78
	v_fmac_f32_e32 v80, 0x32a5705f, v77
	v_sub_f32_e32 v78, v78, v81
	v_add_f32_e32 v78, v78, v80
	v_cvt_i32_f32_e32 v81, v81
	v_exp_f32_e32 v78, v78
	v_exp_f32_e32 v79, v79
	v_cmp_ngt_f32_e32 vcc, s21, v77
	v_lshl_add_u64 v[22:23], v[22:23], 0, s[52:53]
	v_ldexp_f32 v78, v78, v81
	v_ldexp_f32 v79, v79, v100
	v_cndmask_b32_e32 v78, 0, v78, vcc
	v_cmp_ngt_f32_e32 vcc, s21, v68
	v_lshl_add_u64 v[24:25], v[24:25], 0, s[54:55]
	v_lshl_add_u64 v[26:27], v[26:27], 0, s[52:53]
	v_cndmask_b32_e32 v79, 0, v79, vcc
	v_cmp_nlt_f32_e32 vcc, s36, v68
	v_lshl_add_u64 v[28:29], v[28:29], 0, s[52:53]
	v_lshl_add_u64 v[30:31], v[30:31], 0, s[54:55]
	v_cndmask_b32_e32 v68, v67, v79, vcc
	v_cvt_f16_f32_e32 v79, v68
	v_cmp_nlt_f32_e32 vcc, s36, v77
	v_lshl_add_u64 v[32:33], v[32:33], 0, s[52:53]
	v_lshl_add_u64 v[34:35], v[34:35], 0, s[52:53]
	v_cndmask_b32_e32 v77, v67, v78, vcc
	v_cvt_f16_f32_e32 v98, v77
	ds_write_b16 v57, v79
	ds_read_u16 v99, v65
	ds_read_u16 v100, v65 offset:8
	ds_read_u16 v101, v65 offset:16
	;; [unrolled: 1-line block ×7, first 2 shown]
	v_fma_f32 v50, v50, v77, v68
	v_lshl_add_u64 v[36:37], v[36:37], 0, s[52:53]
	s_cmp_ge_i32 s16, s42
	s_waitcnt vmcnt(3)
	v_lshlrev_b32_e32 v105, 16, v84
	v_and_b32_e32 v84, 0xffff0000, v84
	v_lshlrev_b32_e32 v106, 16, v85
	v_and_b32_e32 v85, 0xffff0000, v85
	v_cvt_f16_f32_e32 v84, v84
	v_cvt_f16_f32_e32 v105, v105
	v_lshlrev_b32_e32 v104, 16, v83
	v_and_b32_e32 v83, 0xffff0000, v83
	v_cvt_f16_f32_e32 v85, v85
	v_cvt_f16_f32_e32 v106, v106
	;; [unrolled: 1-line block ×4, first 2 shown]
	v_pack_b32_f16 v84, v105, v84
	v_pack_b32_f16 v85, v106, v85
	s_waitcnt lgkmcnt(7)
	v_pk_mul_f16 v84, v99, v84 op_sel_hi:[0,1]
	v_pack_b32_f16 v83, v104, v83
	v_pk_fma_f16 v104, v98, v74, v84 op_sel_hi:[0,1,1]
	v_pk_mul_f16 v74, v99, v85 op_sel_hi:[0,1]
	v_pk_fma_f16 v105, v98, v73, v74 op_sel_hi:[0,1,1]
	s_waitcnt vmcnt(2)
	v_lshlrev_b32_e32 v73, 16, v86
	v_and_b32_e32 v86, 0xffff0000, v86
	v_cvt_f16_f32_e32 v86, v86
	v_cvt_f16_f32_e32 v73, v73
	v_lshlrev_b32_e32 v106, 16, v87
	v_and_b32_e32 v87, 0xffff0000, v87
	v_lshlrev_b32_e32 v103, 16, v82
	v_and_b32_e32 v82, 0xffff0000, v82
	v_cvt_f16_f32_e32 v87, v87
	v_cvt_f16_f32_e32 v106, v106
	v_lshlrev_b32_e32 v107, 16, v88
	v_and_b32_e32 v88, 0xffff0000, v88
	v_cvt_f16_f32_e32 v82, v82
	v_cvt_f16_f32_e32 v103, v103
	;; [unrolled: 1-line block ×4, first 2 shown]
	v_lshlrev_b32_e32 v108, 16, v89
	v_and_b32_e32 v89, 0xffff0000, v89
	v_cvt_f16_f32_e32 v89, v89
	v_cvt_f16_f32_e32 v108, v108
	v_pack_b32_f16 v73, v73, v86
	v_pack_b32_f16 v86, v106, v87
	v_pk_mul_f16 v73, v99, v73 op_sel_hi:[0,1]
	v_pack_b32_f16 v82, v103, v82
	v_pk_mul_f16 v83, v99, v83 op_sel_hi:[0,1]
	v_pack_b32_f16 v87, v107, v88
	v_pk_fma_f16 v106, v98, v72, v73 op_sel_hi:[0,1,1]
	v_pk_mul_f16 v72, v99, v86 op_sel_hi:[0,1]
	v_pk_mul_f16 v82, v99, v82 op_sel_hi:[0,1]
	v_pk_fma_f16 v103, v98, v75, v83 op_sel_hi:[0,1,1]
	v_lshl_add_u64 v[74:75], v[38:39], 0, s[26:27]
	v_pk_fma_f16 v107, v98, v71, v72 op_sel_hi:[0,1,1]
	v_pk_mul_f16 v71, v99, v87 op_sel_hi:[0,1]
	s_waitcnt vmcnt(1)
	v_lshlrev_b32_e32 v86, 16, v91
	v_and_b32_e32 v87, 0xffff0000, v91
	v_pk_fma_f16 v51, v98, v51, v82 op_sel_hi:[0,1,1]
	global_load_dwordx4 v[82:85], v[74:75], off
	v_pack_b32_f16 v88, v108, v89
	v_pk_fma_f16 v108, v98, v70, v71 op_sel_hi:[0,1,1]
	global_load_dwordx4 v[70:73], v[74:75], off offset:128
	v_lshlrev_b32_e32 v74, 16, v90
	v_and_b32_e32 v75, 0xffff0000, v90
	v_cvt_f16_f32_e32 v87, v87
	v_cvt_f16_f32_e32 v86, v86
	;; [unrolled: 1-line block ×4, first 2 shown]
	v_pk_mul_f16 v88, v99, v88 op_sel_hi:[0,1]
	v_pack_b32_f16 v91, v86, v87
	v_lshlrev_b32_e32 v86, 16, v93
	v_and_b32_e32 v87, 0xffff0000, v93
	v_pack_b32_f16 v90, v74, v75
	v_lshlrev_b32_e32 v74, 16, v92
	v_and_b32_e32 v75, 0xffff0000, v92
	v_cvt_f16_f32_e32 v92, v87
	v_cvt_f16_f32_e32 v93, v86
	;; [unrolled: 1-line block ×4, first 2 shown]
	s_waitcnt lgkmcnt(6)
	v_pk_fma_f16 v51, v100, v90, v51 op_sel_hi:[0,1,1]
	v_pack_b32_f16 v92, v93, v92
	s_waitcnt vmcnt(2)
	v_lshlrev_b32_e32 v90, 16, v94
	v_and_b32_e32 v93, 0xffff0000, v94
	v_cvt_f16_f32_e32 v93, v93
	v_cvt_f16_f32_e32 v90, v90
	v_pk_fma_f16 v69, v98, v69, v88 op_sel_hi:[0,1,1]
	v_pack_b32_f16 v98, v74, v75
	v_lshl_add_u64 v[74:75], v[42:43], 0, s[26:27]
	global_load_dwordx4 v[86:89], v[74:75], off
	v_pk_fma_f16 v94, v100, v91, v103 op_sel_hi:[0,1,1]
	v_pk_fma_f16 v99, v100, v92, v105 op_sel_hi:[0,1,1]
	v_pack_b32_f16 v103, v90, v93
	v_lshlrev_b32_e32 v90, 16, v95
	v_and_b32_e32 v91, 0xffff0000, v95
	v_lshlrev_b32_e32 v92, 16, v96
	v_and_b32_e32 v93, 0xffff0000, v96
	v_cvt_f16_f32_e32 v91, v91
	v_cvt_f16_f32_e32 v90, v90
	;; [unrolled: 1-line block ×4, first 2 shown]
	v_pk_fma_f16 v98, v100, v98, v104 op_sel_hi:[0,1,1]
	v_lshlrev_b32_e32 v95, 16, v97
	v_and_b32_e32 v96, 0xffff0000, v97
	v_pack_b32_f16 v97, v90, v91
	v_pack_b32_f16 v104, v92, v93
	global_load_dwordx4 v[90:93], v[74:75], off offset:128
	v_cvt_f16_f32_e32 v96, v96
	v_cvt_f16_f32_e32 v95, v95
	v_lshl_add_u64 v[38:39], v[38:39], 0, s[54:55]
	v_lshl_add_u64 v[42:43], v[42:43], 0, s[54:55]
	v_pack_b32_f16 v74, v95, v96
	v_pk_fma_f16 v95, v100, v103, v106 op_sel_hi:[0,1,1]
	v_pk_fma_f16 v96, v100, v97, v107 op_sel_hi:[0,1,1]
	v_pk_fma_f16 v97, v100, v104, v108 op_sel_hi:[0,1,1]
	v_pk_fma_f16 v69, v100, v74, v69 op_sel_hi:[0,1,1]
	s_waitcnt vmcnt(3)
	v_lshlrev_b32_e32 v100, 16, v84
	v_and_b32_e32 v84, 0xffff0000, v84
	v_lshlrev_b32_e32 v103, 16, v85
	v_and_b32_e32 v85, 0xffff0000, v85
	;; [unrolled: 2-line block ×4, first 2 shown]
	v_cvt_f16_f32_e32 v84, v84
	v_cvt_f16_f32_e32 v100, v100
	;; [unrolled: 1-line block ×6, first 2 shown]
	v_pack_b32_f16 v100, v100, v84
	v_pack_b32_f16 v103, v103, v85
	v_cvt_f16_f32_e32 v75, v75
	v_cvt_f16_f32_e32 v74, v74
	v_pack_b32_f16 v104, v82, v83
	s_waitcnt lgkmcnt(5)
	v_pk_fma_f16 v98, v101, v100, v98 op_sel_hi:[0,1,1]
	v_pk_fma_f16 v99, v101, v103, v99 op_sel_hi:[0,1,1]
	s_waitcnt vmcnt(2)
	v_lshlrev_b32_e32 v100, 16, v70
	v_and_b32_e32 v70, 0xffff0000, v70
	v_lshlrev_b32_e32 v103, 16, v71
	v_and_b32_e32 v71, 0xffff0000, v71
	v_pk_fma_f16 v94, v101, v104, v94 op_sel_hi:[0,1,1]
	v_cvt_f16_f32_e32 v70, v70
	v_cvt_f16_f32_e32 v100, v100
	;; [unrolled: 1-line block ×4, first 2 shown]
	v_lshlrev_b32_e32 v104, 16, v72
	v_and_b32_e32 v72, 0xffff0000, v72
	v_lshlrev_b32_e32 v105, 16, v73
	v_and_b32_e32 v73, 0xffff0000, v73
	v_cvt_f16_f32_e32 v72, v72
	v_cvt_f16_f32_e32 v104, v104
	;; [unrolled: 1-line block ×4, first 2 shown]
	v_pack_b32_f16 v74, v74, v75
	v_pk_fma_f16 v51, v101, v74, v51 op_sel_hi:[0,1,1]
	v_lshl_add_u64 v[74:75], v[44:45], 0, s[26:27]
	v_pack_b32_f16 v70, v100, v70
	v_pack_b32_f16 v71, v103, v71
	global_load_dwordx4 v[82:85], v[74:75], off
	v_pack_b32_f16 v100, v104, v72
	v_pack_b32_f16 v103, v105, v73
	v_pk_fma_f16 v95, v101, v70, v95 op_sel_hi:[0,1,1]
	v_pk_fma_f16 v96, v101, v71, v96 op_sel_hi:[0,1,1]
	global_load_dwordx4 v[70:73], v[74:75], off offset:128
	s_waitcnt vmcnt(3)
	v_lshlrev_b32_e32 v74, 16, v86
	v_and_b32_e32 v75, 0xffff0000, v86
	v_cvt_f16_f32_e32 v75, v75
	v_cvt_f16_f32_e32 v74, v74
	v_lshlrev_b32_e32 v86, 16, v87
	v_and_b32_e32 v87, 0xffff0000, v87
	v_pk_fma_f16 v97, v101, v100, v97 op_sel_hi:[0,1,1]
	v_pack_b32_f16 v100, v74, v75
	v_lshlrev_b32_e32 v74, 16, v88
	v_and_b32_e32 v75, 0xffff0000, v88
	v_cvt_f16_f32_e32 v87, v87
	v_cvt_f16_f32_e32 v86, v86
	;; [unrolled: 1-line block ×4, first 2 shown]
	s_waitcnt lgkmcnt(4)
	v_pk_fma_f16 v51, v102, v100, v51 op_sel_hi:[0,1,1]
	s_waitcnt vmcnt(2)
	v_lshlrev_b32_e32 v100, 16, v90
	v_and_b32_e32 v90, 0xffff0000, v90
	v_cvt_f16_f32_e32 v90, v90
	v_cvt_f16_f32_e32 v100, v100
	v_pk_fma_f16 v69, v101, v103, v69 op_sel_hi:[0,1,1]
	v_pack_b32_f16 v101, v86, v87
	v_lshlrev_b32_e32 v86, 16, v89
	v_and_b32_e32 v87, 0xffff0000, v89
	v_pack_b32_f16 v105, v74, v75
	v_lshl_add_u64 v[74:75], v[48:49], 0, s[26:27]
	v_cvt_f16_f32_e32 v103, v87
	v_cvt_f16_f32_e32 v104, v86
	global_load_dwordx4 v[86:89], v[74:75], off
	v_pk_fma_f16 v94, v102, v101, v94 op_sel_hi:[0,1,1]
	v_pack_b32_f16 v100, v100, v90
	v_lshlrev_b32_e32 v90, 16, v91
	v_and_b32_e32 v91, 0xffff0000, v91
	v_lshlrev_b32_e32 v101, 16, v92
	v_and_b32_e32 v92, 0xffff0000, v92
	v_cvt_f16_f32_e32 v91, v91
	v_cvt_f16_f32_e32 v90, v90
	;; [unrolled: 1-line block ×4, first 2 shown]
	v_pack_b32_f16 v103, v104, v103
	v_pk_fma_f16 v99, v102, v103, v99 op_sel_hi:[0,1,1]
	v_lshlrev_b32_e32 v103, 16, v93
	v_and_b32_e32 v93, 0xffff0000, v93
	v_pk_fma_f16 v98, v102, v105, v98 op_sel_hi:[0,1,1]
	v_cvt_f16_f32_e32 v104, v93
	v_pack_b32_f16 v105, v90, v91
	v_pack_b32_f16 v101, v101, v92
	global_load_dwordx4 v[90:93], v[74:75], off offset:128
	v_cvt_f16_f32_e32 v103, v103
	v_pk_fma_f16 v95, v102, v100, v95 op_sel_hi:[0,1,1]
	v_pk_fma_f16 v97, v102, v101, v97 op_sel_hi:[0,1,1]
	;; [unrolled: 1-line block ×3, first 2 shown]
	v_pack_b32_f16 v74, v103, v104
	v_pk_fma_f16 v69, v102, v74, v69 op_sel_hi:[0,1,1]
	v_lshl_add_u64 v[44:45], v[44:45], 0, s[54:55]
	v_lshl_add_u64 v[48:49], v[48:49], 0, s[54:55]
	s_waitcnt vmcnt(3)
	v_lshlrev_b32_e32 v74, 16, v82
	v_and_b32_e32 v75, 0xffff0000, v82
	v_lshlrev_b32_e32 v82, 16, v83
	v_and_b32_e32 v83, 0xffff0000, v83
	;; [unrolled: 2-line block ×4, first 2 shown]
	v_cvt_f16_f32_e32 v75, v75
	v_cvt_f16_f32_e32 v74, v74
	;; [unrolled: 1-line block ×8, first 2 shown]
	v_pack_b32_f16 v74, v74, v75
	v_pack_b32_f16 v102, v82, v83
	v_pack_b32_f16 v100, v100, v84
	v_pack_b32_f16 v101, v101, v85
	s_waitcnt lgkmcnt(3)
	v_pk_fma_f16 v51, v81, v74, v51 op_sel_hi:[0,1,1]
	v_lshl_add_u64 v[74:75], v[46:47], 0, s[26:27]
	v_pk_fma_f16 v94, v81, v102, v94 op_sel_hi:[0,1,1]
	v_pk_fma_f16 v98, v81, v100, v98 op_sel_hi:[0,1,1]
	;; [unrolled: 1-line block ×3, first 2 shown]
	s_waitcnt vmcnt(2)
	v_lshlrev_b32_e32 v100, 16, v70
	v_and_b32_e32 v70, 0xffff0000, v70
	v_lshlrev_b32_e32 v101, 16, v71
	v_and_b32_e32 v71, 0xffff0000, v71
	;; [unrolled: 2-line block ×4, first 2 shown]
	global_load_dwordx4 v[82:85], v[74:75], off
	v_cvt_f16_f32_e32 v70, v70
	v_cvt_f16_f32_e32 v100, v100
	;; [unrolled: 1-line block ×8, first 2 shown]
	v_pack_b32_f16 v100, v100, v70
	v_pack_b32_f16 v101, v101, v71
	;; [unrolled: 1-line block ×4, first 2 shown]
	global_load_dwordx4 v[70:73], v[74:75], off offset:128
	s_waitcnt vmcnt(3)
	v_lshlrev_b32_e32 v74, 16, v86
	v_and_b32_e32 v75, 0xffff0000, v86
	v_cvt_f16_f32_e32 v75, v75
	v_cvt_f16_f32_e32 v74, v74
	v_lshlrev_b32_e32 v86, 16, v87
	v_and_b32_e32 v87, 0xffff0000, v87
	v_cvt_f16_f32_e32 v87, v87
	v_cvt_f16_f32_e32 v86, v86
	v_pk_fma_f16 v95, v81, v100, v95 op_sel_hi:[0,1,1]
	v_pk_fma_f16 v96, v81, v101, v96 op_sel_hi:[0,1,1]
	v_pk_fma_f16 v97, v81, v102, v97 op_sel_hi:[0,1,1]
	v_pk_fma_f16 v69, v81, v103, v69 op_sel_hi:[0,1,1]
	v_pack_b32_f16 v81, v74, v75
	v_lshlrev_b32_e32 v74, 16, v88
	v_and_b32_e32 v75, 0xffff0000, v88
	v_cvt_f16_f32_e32 v101, v75
	v_cvt_f16_f32_e32 v102, v74
	v_lshlrev_b32_e32 v74, 16, v89
	v_and_b32_e32 v75, 0xffff0000, v89
	s_waitcnt lgkmcnt(2)
	v_pk_fma_f16 v51, v80, v81, v51 op_sel_hi:[0,1,1]
	s_waitcnt vmcnt(2)
	v_lshlrev_b32_e32 v81, 16, v90
	v_and_b32_e32 v90, 0xffff0000, v90
	v_cvt_f16_f32_e32 v103, v75
	v_cvt_f16_f32_e32 v104, v74
	v_lshl_add_u64 v[74:75], v[40:41], 0, s[26:27]
	v_cvt_f16_f32_e32 v90, v90
	v_cvt_f16_f32_e32 v81, v81
	v_pack_b32_f16 v100, v86, v87
	global_load_dwordx4 v[86:89], v[74:75], off
	v_pack_b32_f16 v101, v102, v101
	v_pack_b32_f16 v81, v81, v90
	v_lshlrev_b32_e32 v90, 16, v91
	v_and_b32_e32 v91, 0xffff0000, v91
	v_pack_b32_f16 v102, v104, v103
	v_pk_fma_f16 v94, v80, v100, v94 op_sel_hi:[0,1,1]
	v_pk_fma_f16 v98, v80, v101, v98 op_sel_hi:[0,1,1]
	v_cvt_f16_f32_e32 v100, v91
	v_cvt_f16_f32_e32 v101, v90
	v_lshlrev_b32_e32 v90, 16, v92
	v_and_b32_e32 v91, 0xffff0000, v92
	v_pk_fma_f16 v99, v80, v102, v99 op_sel_hi:[0,1,1]
	v_cvt_f16_f32_e32 v102, v91
	v_cvt_f16_f32_e32 v103, v90
	v_lshlrev_b32_e32 v90, 16, v93
	v_and_b32_e32 v91, 0xffff0000, v93
	v_cvt_f16_f32_e32 v104, v91
	v_cvt_f16_f32_e32 v105, v90
	global_load_dwordx4 v[90:93], v[74:75], off offset:128
	v_pack_b32_f16 v74, v101, v100
	v_pack_b32_f16 v75, v103, v102
	;; [unrolled: 1-line block ×3, first 2 shown]
	v_pk_fma_f16 v81, v80, v81, v95 op_sel_hi:[0,1,1]
	v_pk_fma_f16 v74, v80, v74, v96 op_sel_hi:[0,1,1]
	;; [unrolled: 1-line block ×4, first 2 shown]
	v_lshl_add_u64 v[40:41], v[40:41], 0, s[54:55]
	v_lshl_add_u64 v[46:47], v[46:47], 0, s[54:55]
	s_waitcnt vmcnt(3)
	v_lshlrev_b32_e32 v80, 16, v82
	v_and_b32_e32 v82, 0xffff0000, v82
	v_lshlrev_b32_e32 v95, 16, v83
	v_and_b32_e32 v83, 0xffff0000, v83
	;; [unrolled: 2-line block ×4, first 2 shown]
	v_cvt_f16_f32_e32 v82, v82
	v_cvt_f16_f32_e32 v80, v80
	;; [unrolled: 1-line block ×8, first 2 shown]
	v_pack_b32_f16 v80, v80, v82
	v_pack_b32_f16 v82, v95, v83
	;; [unrolled: 1-line block ×4, first 2 shown]
	s_waitcnt lgkmcnt(1)
	v_pk_fma_f16 v51, v79, v80, v51 op_sel_hi:[0,1,1]
	v_pk_fma_f16 v80, v79, v82, v94 op_sel_hi:[0,1,1]
	;; [unrolled: 1-line block ×4, first 2 shown]
	s_waitcnt vmcnt(2)
	v_lshlrev_b32_e32 v84, 16, v70
	v_and_b32_e32 v70, 0xffff0000, v70
	v_lshlrev_b32_e32 v85, 16, v71
	v_and_b32_e32 v71, 0xffff0000, v71
	;; [unrolled: 2-line block ×4, first 2 shown]
	v_cvt_f16_f32_e32 v70, v70
	v_cvt_f16_f32_e32 v84, v84
	;; [unrolled: 1-line block ×8, first 2 shown]
	v_pack_b32_f16 v70, v84, v70
	v_pack_b32_f16 v71, v85, v71
	;; [unrolled: 1-line block ×4, first 2 shown]
	v_pk_fma_f16 v70, v79, v70, v81 op_sel_hi:[0,1,1]
	v_pk_fma_f16 v71, v79, v71, v74 op_sel_hi:[0,1,1]
	;; [unrolled: 1-line block ×4, first 2 shown]
	s_waitcnt vmcnt(1)
	v_lshlrev_b32_e32 v72, 16, v86
	v_and_b32_e32 v73, 0xffff0000, v86
	v_lshlrev_b32_e32 v74, 16, v87
	v_and_b32_e32 v75, 0xffff0000, v87
	;; [unrolled: 2-line block ×4, first 2 shown]
	v_cvt_f16_f32_e32 v73, v73
	v_cvt_f16_f32_e32 v72, v72
	;; [unrolled: 1-line block ×8, first 2 shown]
	v_pack_b32_f16 v72, v72, v73
	v_pack_b32_f16 v73, v74, v75
	;; [unrolled: 1-line block ×4, first 2 shown]
	s_waitcnt lgkmcnt(0)
	v_pk_fma_f16 v51, v78, v72, v51 op_sel_hi:[0,1,1]
	v_pk_fma_f16 v75, v78, v73, v80 op_sel_hi:[0,1,1]
	;; [unrolled: 1-line block ×4, first 2 shown]
	s_waitcnt vmcnt(0)
	v_lshlrev_b32_e32 v72, 16, v90
	v_and_b32_e32 v79, 0xffff0000, v90
	v_lshlrev_b32_e32 v80, 16, v91
	v_and_b32_e32 v82, 0xffff0000, v91
	;; [unrolled: 2-line block ×4, first 2 shown]
	v_cvt_f16_f32_e32 v79, v79
	v_cvt_f16_f32_e32 v72, v72
	;; [unrolled: 1-line block ×8, first 2 shown]
	v_pack_b32_f16 v72, v72, v79
	v_pack_b32_f16 v79, v80, v82
	;; [unrolled: 1-line block ×4, first 2 shown]
	v_pk_fma_f16 v72, v78, v72, v70 op_sel_hi:[0,1,1]
	v_pk_fma_f16 v71, v78, v79, v71 op_sel_hi:[0,1,1]
	;; [unrolled: 1-line block ×4, first 2 shown]
	s_cbranch_scc1 .LBB18_37
; %bb.36:                               ;   in Loop: Header=BB18_11 Depth=1
	v_mov_b32_e32 v77, v76
	s_branch .LBB18_11
.LBB18_37:
	s_cmp_lg_u64 s[24:25], 0
	v_or_b32_e32 v0, s3, v53
	s_cselect_b64 s[4:5], -1, 0
	v_cmp_eq_u32_e32 vcc, 0, v0
	s_and_b64 s[6:7], vcc, s[4:5]
	s_and_saveexec_b64 s[4:5], s[6:7]
	s_cbranch_execz .LBB18_39
; %bb.38:
	s_lshl_b64 s[6:7], s[40:41], 2
	s_add_u32 s6, s24, s6
	s_addc_u32 s7, s25, s7
	s_load_dword s6, s[6:7], 0x0
	v_max_f32_e32 v0, v76, v76
	s_mov_b32 s7, 0x3fb8aa3b
	s_mov_b32 s8, 0xc2ce8ed0
	;; [unrolled: 1-line block ×3, first 2 shown]
	s_waitcnt lgkmcnt(0)
	v_max_f32_e64 v1, s6, s6
	v_max_f32_e32 v0, v1, v0
	v_sub_f32_e32 v1, v76, v0
	v_mul_f32_e32 v2, 0x3fb8aa3b, v1
	v_fma_f32 v3, v1, s7, -v2
	v_rndne_f32_e32 v4, v2
	v_fmac_f32_e32 v3, 0x32a5705f, v1
	v_sub_f32_e32 v2, v2, v4
	v_add_f32_e32 v2, v2, v3
	v_cvt_i32_f32_e32 v3, v4
	v_exp_f32_e32 v2, v2
	v_cmp_ngt_f32_e32 vcc, s8, v1
	v_mov_b32_e32 v76, v0
	v_ldexp_f32 v2, v2, v3
	v_sub_f32_e32 v3, s6, v0
	v_mul_f32_e32 v4, 0x3fb8aa3b, v3
	v_fma_f32 v5, v3, s7, -v4
	v_rndne_f32_e32 v6, v4
	v_fmac_f32_e32 v5, 0x32a5705f, v3
	v_sub_f32_e32 v4, v4, v6
	v_add_f32_e32 v4, v4, v5
	v_exp_f32_e32 v4, v4
	v_cvt_i32_f32_e32 v5, v6
	v_cndmask_b32_e32 v2, 0, v2, vcc
	v_mov_b32_e32 v6, 0x7f800000
	v_cmp_nlt_f32_e32 vcc, s9, v1
	s_nop 1
	v_cndmask_b32_e32 v1, v6, v2, vcc
	v_ldexp_f32 v2, v4, v5
	v_cmp_ngt_f32_e32 vcc, s8, v3
	v_cvt_f16_f32_e32 v4, v1
	v_pk_mul_f16 v51, v4, v51 op_sel_hi:[0,1]
	v_cndmask_b32_e32 v2, 0, v2, vcc
	v_cmp_nlt_f32_e32 vcc, s9, v3
	v_pk_mul_f16 v75, v4, v75 op_sel_hi:[0,1]
	v_pk_mul_f16 v74, v4, v74 op_sel_hi:[0,1]
	v_cndmask_b32_e32 v2, v6, v2, vcc
	v_cmp_eq_u32_e32 vcc, 0, v54
	v_pk_mul_f16 v73, v4, v73 op_sel_hi:[0,1]
	v_pk_mul_f16 v72, v4, v72 op_sel_hi:[0,1]
	v_cndmask_b32_e32 v2, 0, v2, vcc
	v_fmac_f32_e32 v2, v50, v1
	v_pk_mul_f16 v71, v4, v71 op_sel_hi:[0,1]
	v_pk_mul_f16 v70, v4, v70 op_sel_hi:[0,1]
	;; [unrolled: 1-line block ×3, first 2 shown]
	v_mov_b32_e32 v50, v2
.LBB18_39:
	s_or_b64 exec, exec, s[4:5]
	s_and_saveexec_b64 s[4:5], s[14:15]
	s_cbranch_execz .LBB18_41
; %bb.40:
	v_mov_b32_e32 v0, 0xfeffffff
	v_mov_b32_e32 v1, 0
	v_add_u32_e32 v2, 0x1000, v59
	ds_write2_b32 v2, v0, v1 offset1:32
.LBB18_41:
	s_or_b64 exec, exec, s[4:5]
	v_cmp_eq_u32_e32 vcc, 0, v54
	v_lshlrev_b32_e32 v6, 2, v53
	s_waitcnt lgkmcnt(0)
	s_barrier
	s_and_saveexec_b64 s[4:5], vcc
	s_cbranch_execz .LBB18_43
; %bb.42:
	ds_write_b32 v6, v76 offset:4096
.LBB18_43:
	s_or_b64 exec, exec, s[4:5]
	v_mbcnt_hi_u32_b32 v4, -1, v55
	s_waitcnt lgkmcnt(0)
	s_barrier
	ds_read_b32 v0, v59 offset:4096
	v_and_b32_e32 v1, 0x60, v4
	v_add_u32_e32 v7, 32, v1
	v_xor_b32_e32 v1, 16, v4
	v_cmp_lt_i32_e64 s[4:5], v1, v7
	s_nop 1
	v_cndmask_b32_e64 v1, v4, v1, s[4:5]
	v_lshlrev_b32_e32 v5, 2, v1
	s_waitcnt lgkmcnt(0)
	ds_bpermute_b32 v1, v5, v0
	v_max_f32_e32 v0, v0, v0
	s_waitcnt lgkmcnt(0)
	v_max_f32_e32 v1, v1, v1
	v_max_f32_e32 v0, v0, v1
	v_xor_b32_e32 v1, 8, v4
	v_cmp_lt_i32_e64 s[4:5], v1, v7
	s_nop 1
	v_cndmask_b32_e64 v1, v4, v1, s[4:5]
	v_lshlrev_b32_e32 v1, 2, v1
	ds_bpermute_b32 v2, v1, v0
	s_waitcnt lgkmcnt(0)
	v_max_f32_e32 v2, v2, v2
	v_max_f32_e32 v0, v0, v2
	v_xor_b32_e32 v2, 4, v4
	v_cmp_lt_i32_e64 s[4:5], v2, v7
	s_nop 1
	v_cndmask_b32_e64 v2, v4, v2, s[4:5]
	v_lshlrev_b32_e32 v2, 2, v2
	ds_bpermute_b32 v3, v2, v0
	;; [unrolled: 9-line block ×4, first 2 shown]
	s_mov_b32 s4, 0x3fb8aa3b
	s_waitcnt lgkmcnt(0)
	v_max_f32_e32 v7, v7, v7
	v_max_f32_e32 v0, v0, v7
	v_sub_f32_e32 v7, v76, v0
	v_mul_f32_e32 v8, 0x3fb8aa3b, v7
	v_fma_f32 v9, v7, s4, -v8
	v_rndne_f32_e32 v10, v8
	v_fmamk_f32 v9, v7, 0x32a5705f, v9
	v_sub_f32_e32 v8, v8, v10
	v_add_f32_e32 v8, v8, v9
	v_exp_f32_e32 v8, v8
	v_cvt_i32_f32_e32 v9, v10
	s_mov_b32 s4, 0xc2ce8ed0
	v_cmp_ngt_f32_e64 s[4:5], s4, v7
	v_ldexp_f32 v8, v8, v9
	s_nop 0
	v_cndmask_b32_e64 v8, 0, v8, s[4:5]
	s_mov_b32 s4, 0x42b17218
	v_mov_b32_e32 v9, 0x7f800000
	v_cmp_nlt_f32_e64 s[4:5], s4, v7
	s_nop 1
	v_cndmask_b32_e64 v7, v9, v8, s[4:5]
	v_mul_f32_e32 v8, v50, v7
	ds_bpermute_b32 v8, v5, v8
	v_cvt_f16_f32_e32 v9, v7
	s_movk_i32 s4, 0x70
	s_waitcnt lgkmcnt(0)
	v_fmac_f32_e32 v8, v50, v7
	ds_bpermute_b32 v7, v1, v8
	v_pk_mul_f16 v10, v9, v51 op_sel_hi:[0,1]
	v_pk_mul_f16 v11, v9, v75 op_sel_hi:[0,1]
	;; [unrolled: 1-line block ×4, first 2 shown]
	s_waitcnt lgkmcnt(0)
	v_add_f32_e32 v7, v8, v7
	ds_bpermute_b32 v8, v2, v7
	v_pk_mul_f16 v14, v9, v72 op_sel_hi:[0,1]
	v_pk_mul_f16 v15, v9, v71 op_sel_hi:[0,1]
	;; [unrolled: 1-line block ×4, first 2 shown]
	s_waitcnt lgkmcnt(0)
	v_add_f32_e32 v7, v7, v8
	ds_bpermute_b32 v8, v3, v7
	v_lshlrev_b32_e32 v9, 5, v54
	v_and_b32_e32 v9, 0xf00, v9
	v_lshl_add_u32 v9, v53, 10, v9
	v_and_or_b32 v9, v52, s4, v9
	s_waitcnt lgkmcnt(0)
	v_add_f32_e32 v7, v7, v8
	ds_bpermute_b32 v8, v4, v7
	ds_write_b128 v9, v[10:13]
	ds_write_b128 v9, v[14:17] offset:128
	s_and_saveexec_b64 s[4:5], vcc
	s_cbranch_execz .LBB18_45
; %bb.44:
	s_waitcnt lgkmcnt(2)
	v_add_f32_e32 v7, v7, v8
	ds_write_b32 v6, v7 offset:4224
.LBB18_45:
	s_or_b64 exec, exec, s[4:5]
	s_waitcnt lgkmcnt(0)
	s_barrier
	ds_read_b32 v7, v59 offset:4224
	ds_read_u16 v6, v57
	ds_read_u16 v8, v57 offset:256
	ds_read_u16 v10, v57 offset:512
	;; [unrolled: 1-line block ×6, first 2 shown]
	s_waitcnt lgkmcnt(7)
	ds_bpermute_b32 v9, v5, v7
	s_waitcnt lgkmcnt(7)
	v_cvt_f32_f16_e32 v5, v6
	s_waitcnt lgkmcnt(6)
	v_cvt_f32_f16_e32 v6, v8
	s_waitcnt lgkmcnt(5)
	v_cvt_f32_f16_e32 v8, v10
	s_waitcnt lgkmcnt(4)
	v_cvt_f32_f16_e32 v10, v11
	v_add_f32_e32 v5, 0, v5
	v_add_f32_e32 v5, v5, v6
	s_waitcnt lgkmcnt(3)
	v_cvt_f32_f16_e32 v6, v12
	v_add_f32_e32 v5, v5, v8
	s_waitcnt lgkmcnt(2)
	v_cvt_f32_f16_e32 v8, v13
	;; [unrolled: 3-line block ×3, first 2 shown]
	ds_read_u16 v11, v57 offset:1792
	ds_read_u16 v12, v57 offset:2048
	;; [unrolled: 1-line block ×8, first 2 shown]
	s_waitcnt lgkmcnt(7)
	v_cvt_f32_f16_e32 v11, v11
	v_add_f32_e32 v5, v5, v6
	v_add_f32_e32 v5, v5, v8
	s_waitcnt lgkmcnt(6)
	v_cvt_f32_f16_e32 v6, v12
	v_add_f32_e32 v5, v5, v10
	s_waitcnt lgkmcnt(5)
	v_cvt_f32_f16_e32 v10, v13
	;; [unrolled: 3-line block ×3, first 2 shown]
	s_waitcnt lgkmcnt(3)
	v_cvt_f32_f16_e32 v8, v15
	v_add_f32_e32 v5, v5, v6
	v_add_f32_e32 v5, v5, v10
	;; [unrolled: 1-line block ×3, first 2 shown]
	v_pk_add_f32 v[6:7], v[6:7], v[8:9]
	ds_bpermute_b32 v9, v1, v7
	s_waitcnt lgkmcnt(3)
	v_cvt_f32_f16_e32 v8, v16
	ds_read_u16 v1, v57 offset:3840
	s_load_dword s4, s[0:1], 0xd4
	s_waitcnt lgkmcnt(0)
	v_pk_add_f32 v[6:7], v[6:7], v[8:9]
	ds_bpermute_b32 v9, v2, v7
	v_cvt_f32_f16_e32 v8, v17
	v_cvt_f32_f16_e32 v2, v18
	s_cmp_eq_u32 s4, 1
	s_waitcnt lgkmcnt(0)
	v_pk_add_f32 v[6:7], v[6:7], v[8:9]
	ds_bpermute_b32 v3, v3, v7
	s_waitcnt lgkmcnt(0)
	v_pk_add_f32 v[2:3], v[6:7], v[2:3]
	ds_bpermute_b32 v5, v4, v3
	v_cvt_f32_f16_e32 v4, v1
	v_mov_b32_e32 v6, s28
	v_mov_b32_e32 v7, s29
	s_waitcnt lgkmcnt(0)
	v_pk_add_f32 v[2:3], v[2:3], v[4:5]
	s_nop 0
	v_div_scale_f32 v1, s[0:1], v3, v3, v2
	v_rcp_f32_e32 v4, v1
	s_mul_i32 s0, s33, s34
	v_fma_f32 v5, -v1, v4, 1.0
	v_fmac_f32_e32 v4, v5, v4
	v_div_scale_f32 v5, vcc, v2, v3, v2
	v_mul_f32_e32 v8, v5, v4
	v_fma_f32 v9, -v1, v8, v5
	v_fmac_f32_e32 v8, v9, v4
	v_fma_f32 v1, -v1, v8, v5
	v_div_fmas_f32 v1, v1, v4, v8
	s_cselect_b64 vcc, -1, 0
	s_add_i32 s0, s0, s2
	s_mul_i32 s0, s0, s35
	s_add_i32 s0, s0, s40
	s_mul_i32 s0, s4, s0
	s_add_i32 s0, s0, s3
	v_div_fixup_f32 v1, v1, v3, v2
	s_cmp_lg_u32 s4, 1
	v_cndmask_b32_e32 v1, v2, v1, vcc
	v_lshl_or_b32 v4, s0, 7, v56
	v_mov_b32_e32 v5, 0
	s_cselect_b64 s[2:3], -1, 0
	v_cmp_eq_u32_e32 vcc, 0, v56
	v_lshl_add_u64 v[6:7], v[4:5], 2, v[6:7]
	s_and_b64 s[2:3], vcc, s[2:3]
	global_store_dword v[6:7], v1, off
	s_and_saveexec_b64 s[4:5], s[2:3]
	s_cbranch_execz .LBB18_47
; %bb.46:
	s_mov_b32 s1, 0
	s_lshl_b64 s[0:1], s[0:1], 3
	s_add_u32 s0, s30, s0
	s_addc_u32 s1, s31, s1
	v_mov_b32_e32 v1, v3
	global_store_dwordx2 v5, v[0:1], s[0:1]
.LBB18_47:
	s_endpgm
	.section	.rodata,"a",@progbits
	.p2align	6, 0x0
	.amdhsa_kernel _ZL18flash_attn_ext_vecILi128ELi1EL9ggml_type2ELS0_30ELb1EEvPKcS2_S2_S2_S2_PKiPfP15HIP_vector_typeIfLj2EEffffjfiS6_IjLj3EEiiiiiiiiiiiliiliiiiil
		.amdhsa_group_segment_fixed_size 4352
		.amdhsa_private_segment_fixed_size 0
		.amdhsa_kernarg_size 464
		.amdhsa_user_sgpr_count 2
		.amdhsa_user_sgpr_dispatch_ptr 0
		.amdhsa_user_sgpr_queue_ptr 0
		.amdhsa_user_sgpr_kernarg_segment_ptr 1
		.amdhsa_user_sgpr_dispatch_id 0
		.amdhsa_user_sgpr_kernarg_preload_length 0
		.amdhsa_user_sgpr_kernarg_preload_offset 0
		.amdhsa_user_sgpr_private_segment_size 0
		.amdhsa_uses_dynamic_stack 0
		.amdhsa_enable_private_segment 0
		.amdhsa_system_sgpr_workgroup_id_x 1
		.amdhsa_system_sgpr_workgroup_id_y 1
		.amdhsa_system_sgpr_workgroup_id_z 1
		.amdhsa_system_sgpr_workgroup_info 0
		.amdhsa_system_vgpr_workitem_id 1
		.amdhsa_next_free_vgpr 109
		.amdhsa_next_free_sgpr 68
		.amdhsa_accum_offset 112
		.amdhsa_reserve_vcc 1
		.amdhsa_float_round_mode_32 0
		.amdhsa_float_round_mode_16_64 0
		.amdhsa_float_denorm_mode_32 3
		.amdhsa_float_denorm_mode_16_64 3
		.amdhsa_dx10_clamp 1
		.amdhsa_ieee_mode 1
		.amdhsa_fp16_overflow 0
		.amdhsa_tg_split 0
		.amdhsa_exception_fp_ieee_invalid_op 0
		.amdhsa_exception_fp_denorm_src 0
		.amdhsa_exception_fp_ieee_div_zero 0
		.amdhsa_exception_fp_ieee_overflow 0
		.amdhsa_exception_fp_ieee_underflow 0
		.amdhsa_exception_fp_ieee_inexact 0
		.amdhsa_exception_int_div_zero 0
	.end_amdhsa_kernel
	.section	.text._ZL18flash_attn_ext_vecILi128ELi1EL9ggml_type2ELS0_30ELb1EEvPKcS2_S2_S2_S2_PKiPfP15HIP_vector_typeIfLj2EEffffjfiS6_IjLj3EEiiiiiiiiiiiliiliiiiil,"axG",@progbits,_ZL18flash_attn_ext_vecILi128ELi1EL9ggml_type2ELS0_30ELb1EEvPKcS2_S2_S2_S2_PKiPfP15HIP_vector_typeIfLj2EEffffjfiS6_IjLj3EEiiiiiiiiiiiliiliiiiil,comdat
.Lfunc_end18:
	.size	_ZL18flash_attn_ext_vecILi128ELi1EL9ggml_type2ELS0_30ELb1EEvPKcS2_S2_S2_S2_PKiPfP15HIP_vector_typeIfLj2EEffffjfiS6_IjLj3EEiiiiiiiiiiiliiliiiiil, .Lfunc_end18-_ZL18flash_attn_ext_vecILi128ELi1EL9ggml_type2ELS0_30ELb1EEvPKcS2_S2_S2_S2_PKiPfP15HIP_vector_typeIfLj2EEffffjfiS6_IjLj3EEiiiiiiiiiiiliiliiiiil
                                        ; -- End function
	.section	.AMDGPU.csdata,"",@progbits
; Kernel info:
; codeLenInByte = 11336
; NumSgprs: 74
; NumVgprs: 109
; NumAgprs: 0
; TotalNumVgprs: 109
; ScratchSize: 0
; MemoryBound: 0
; FloatMode: 240
; IeeeMode: 1
; LDSByteSize: 4352 bytes/workgroup (compile time only)
; SGPRBlocks: 9
; VGPRBlocks: 13
; NumSGPRsForWavesPerEU: 74
; NumVGPRsForWavesPerEU: 109
; AccumOffset: 112
; Occupancy: 4
; WaveLimiterHint : 1
; COMPUTE_PGM_RSRC2:SCRATCH_EN: 0
; COMPUTE_PGM_RSRC2:USER_SGPR: 2
; COMPUTE_PGM_RSRC2:TRAP_HANDLER: 0
; COMPUTE_PGM_RSRC2:TGID_X_EN: 1
; COMPUTE_PGM_RSRC2:TGID_Y_EN: 1
; COMPUTE_PGM_RSRC2:TGID_Z_EN: 1
; COMPUTE_PGM_RSRC2:TIDIG_COMP_CNT: 1
; COMPUTE_PGM_RSRC3_GFX90A:ACCUM_OFFSET: 27
; COMPUTE_PGM_RSRC3_GFX90A:TG_SPLIT: 0
	.section	.text._ZL18flash_attn_ext_vecILi128ELi2EL9ggml_type2ELS0_30ELb0EEvPKcS2_S2_S2_S2_PKiPfP15HIP_vector_typeIfLj2EEffffjfiS6_IjLj3EEiiiiiiiiiiiliiliiiiil,"axG",@progbits,_ZL18flash_attn_ext_vecILi128ELi2EL9ggml_type2ELS0_30ELb0EEvPKcS2_S2_S2_S2_PKiPfP15HIP_vector_typeIfLj2EEffffjfiS6_IjLj3EEiiiiiiiiiiiliiliiiiil,comdat
	.globl	_ZL18flash_attn_ext_vecILi128ELi2EL9ggml_type2ELS0_30ELb0EEvPKcS2_S2_S2_S2_PKiPfP15HIP_vector_typeIfLj2EEffffjfiS6_IjLj3EEiiiiiiiiiiiliiliiiiil ; -- Begin function _ZL18flash_attn_ext_vecILi128ELi2EL9ggml_type2ELS0_30ELb0EEvPKcS2_S2_S2_S2_PKiPfP15HIP_vector_typeIfLj2EEffffjfiS6_IjLj3EEiiiiiiiiiiiliiliiiiil
	.p2align	8
	.type	_ZL18flash_attn_ext_vecILi128ELi2EL9ggml_type2ELS0_30ELb0EEvPKcS2_S2_S2_S2_PKiPfP15HIP_vector_typeIfLj2EEffffjfiS6_IjLj3EEiiiiiiiiiiiliiliiiiil,@function
_ZL18flash_attn_ext_vecILi128ELi2EL9ggml_type2ELS0_30ELb0EEvPKcS2_S2_S2_S2_PKiPfP15HIP_vector_typeIfLj2EEffffjfiS6_IjLj3EEiiiiiiiiiiiliiliiiiil: ; @_ZL18flash_attn_ext_vecILi128ELi2EL9ggml_type2ELS0_30ELb0EEvPKcS2_S2_S2_S2_PKiPfP15HIP_vector_typeIfLj2EEffffjfiS6_IjLj3EEiiiiiiiiiiiliiliiiiil
; %bb.0:
	s_load_dwordx2 s[18:19], s[0:1], 0x64
	s_load_dwordx2 s[54:55], s[0:1], 0x80
	;; [unrolled: 1-line block ×3, first 2 shown]
	v_mov_b32_e32 v97, 1.0
	s_waitcnt lgkmcnt(0)
	v_cvt_f32_u32_e32 v1, s19
	s_sub_i32 s5, 0, s19
	v_rcp_iflag_f32_e32 v1, v1
	s_nop 0
	v_mul_f32_e32 v1, 0x4f7ffffe, v1
	v_cvt_u32_f32_e32 v1, v1
	s_nop 0
	v_readfirstlane_b32 s6, v1
	s_mul_i32 s5, s5, s6
	s_mul_hi_u32 s5, s6, s5
	s_add_i32 s6, s6, s5
	s_mul_hi_u32 s5, s4, s6
	s_mul_i32 s6, s5, s19
	s_sub_i32 s6, s4, s6
	s_add_i32 s7, s5, 1
	s_sub_i32 s8, s6, s19
	s_cmp_ge_u32 s6, s19
	s_cselect_b32 s5, s7, s5
	s_cselect_b32 s6, s8, s6
	s_add_i32 s7, s5, 1
	s_cmp_ge_u32 s6, s19
	s_cselect_b32 s64, s7, s5
	s_abs_i32 s5, s55
	v_cvt_f32_u32_e32 v1, s5
	s_mul_i32 s8, s64, s19
	s_sub_i32 s9, 0, s5
	s_sub_i32 s20, s4, s8
	v_rcp_iflag_f32_e32 v1, v1
	s_abs_i32 s7, s19
	s_xor_b32 s6, s19, s55
	s_ashr_i32 s6, s6, 31
	v_mul_f32_e32 v1, 0x4f7ffffe, v1
	v_cvt_u32_f32_e32 v1, v1
	s_nop 0
	v_readfirstlane_b32 s4, v1
	s_mul_i32 s9, s9, s4
	s_mul_hi_u32 s8, s4, s9
	s_add_i32 s4, s4, s8
	s_mul_hi_u32 s4, s7, s4
	s_mul_i32 s8, s4, s5
	s_sub_i32 s7, s7, s8
	s_add_i32 s9, s4, 1
	s_sub_i32 s8, s7, s5
	s_cmp_ge_u32 s7, s5
	s_cselect_b32 s4, s9, s4
	s_cselect_b32 s7, s8, s7
	s_add_i32 s8, s4, 1
	s_cmp_ge_u32 s7, s5
	s_cselect_b32 s4, s8, s4
	s_xor_b32 s4, s4, s6
	s_sub_i32 s24, s4, s6
	s_abs_i32 s10, s10
	s_abs_i32 s23, s24
	v_cvt_f32_u32_e32 v1, s10
	v_cvt_f32_u32_e32 v2, s23
	s_load_dwordx4 s[12:15], s[0:1], 0x40
	s_load_dword s4, s[0:1], 0x50
	v_rcp_iflag_f32_e32 v1, v1
	v_rcp_iflag_f32_e32 v2, v2
	s_waitcnt lgkmcnt(0)
	v_cmp_le_f32_e64 s[6:7], s13, 0
	s_and_b64 vcc, exec, s[6:7]
	v_mul_f32_e32 v1, 0x4f7ffffe, v1
	v_mul_f32_e32 v2, 0x4f7ffffe, v2
	v_cvt_u32_f32_e32 v1, v1
	v_cvt_u32_f32_e32 v2, v2
	v_readfirstlane_b32 s26, v1
	v_readfirstlane_b32 s27, v2
	s_cbranch_vccnz .LBB19_2
; %bb.1:
	s_sub_i32 s5, s20, s4
	s_lshl_b32 s5, s5, 1
	s_add_i32 s6, s20, 1
	s_or_b32 s7, s5, 1
	s_cmp_lt_u32 s20, s4
	s_cselect_b64 vcc, -1, 0
	s_and_b64 s[4:5], vcc, exec
	v_mov_b32_e32 v1, s15
	v_mov_b32_e32 v2, s14
	s_cselect_b32 s4, s6, s7
	v_cndmask_b32_e32 v18, v1, v2, vcc
	v_cvt_f32_i32_e32 v1, s4
	v_cmp_neq_f32_e32 vcc, 1.0, v18
	s_mov_b32 s4, 0x3f2aaaab
	s_movk_i32 s6, 0x204
	v_cndmask_b32_e32 v19, 1.0, v1, vcc
	v_cmp_eq_f32_e32 vcc, 0, v19
	s_mov_b32 s8, 0x42b17218
	s_mov_b32 s7, 0x7f800000
	v_cndmask_b32_e64 v20, |v18|, 1.0, vcc
	v_frexp_mant_f32_e32 v1, v20
	v_cmp_gt_f32_e64 s[4:5], s4, v1
	s_brev_b32 s14, -2
	s_nop 0
	v_cndmask_b32_e64 v2, 1.0, 2.0, s[4:5]
	v_mul_f32_e32 v1, v1, v2
	v_add_f32_e32 v2, 1.0, v1
	v_rcp_f32_e32 v10, v2
	v_add_f32_e32 v3, -1.0, v2
	v_sub_f32_e32 v5, v1, v3
	v_add_f32_e32 v3, -1.0, v1
	v_mul_f32_e32 v1, v3, v10
	v_mul_f32_e32 v4, v2, v1
	v_fma_f32 v6, v1, v2, -v4
	v_fmac_f32_e32 v6, v1, v5
	v_add_f32_e32 v2, v4, v6
	v_sub_f32_e32 v5, v3, v2
	v_pk_add_f32 v[8:9], v[2:3], v[4:5] neg_lo:[0,1] neg_hi:[0,1]
	v_mov_b32_e32 v7, v2
	v_pk_add_f32 v[2:3], v[8:9], v[6:7] neg_lo:[0,1] neg_hi:[0,1]
	v_mov_b32_e32 v6, 0x3e91f4c4
	v_add_f32_e32 v2, v2, v3
	v_add_f32_e32 v2, v5, v2
	v_mul_f32_e32 v3, v10, v2
	v_add_f32_e32 v2, v1, v3
	v_sub_f32_e32 v1, v2, v1
	v_sub_f32_e32 v1, v3, v1
	v_mul_f32_e32 v3, v2, v2
	v_fma_f32 v5, v2, v2, -v3
	v_add_f32_e32 v4, v1, v1
	v_fmac_f32_e32 v5, v2, v4
	v_add_f32_e32 v4, v3, v5
	v_fmac_f32_e32 v6, 0x3e76c4e1, v4
	v_fmaak_f32 v6, v4, v6, 0x3ecccdef
	v_sub_f32_e32 v3, v4, v3
	v_sub_f32_e32 v12, v5, v3
	v_mul_f32_e32 v3, v4, v6
	v_fma_f32 v5, v4, v6, -v3
	v_fmac_f32_e32 v5, v12, v6
	v_add_f32_e32 v6, v3, v5
	v_add_f32_e32 v7, 0x3f2aaaaa, v6
	v_sub_f32_e32 v3, v6, v3
	v_sub_f32_e32 v3, v5, v3
	v_add_f32_e32 v5, 0xbf2aaaaa, v7
	v_add_f32_e32 v3, 0x31739010, v3
	v_sub_f32_e32 v5, v6, v5
	v_pk_mul_f32 v[8:9], v[2:3], v[4:5]
	v_pk_add_f32 v[10:11], v[2:3], v[4:5]
	v_fma_f32 v6, v4, v2, -v8
	v_fmac_f32_e32 v6, v4, v1
	v_mov_b32_e32 v9, v11
	v_fmac_f32_e32 v6, v12, v2
	v_pk_add_f32 v[4:5], v[8:9], v[6:7]
	v_ldexp_f32 v1, v1, 1
	v_sub_f32_e32 v3, v4, v8
	v_sub_f32_e32 v3, v6, v3
	;; [unrolled: 1-line block ×3, first 2 shown]
	v_add_f32_e32 v9, v11, v6
	v_mov_b32_e32 v6, v5
	v_pk_mul_f32 v[6:7], v[4:5], v[6:7]
	v_cvt_f64_f32_e32 v[10:11], v20
	v_frexp_exp_i32_f64_e32 v7, v[10:11]
	v_subbrev_co_u32_e64 v7, s[4:5], 0, v7, s[4:5]
	v_cvt_f32_i32_e32 v7, v7
	v_fma_f32 v8, v4, v5, -v6
	v_fmac_f32_e32 v8, v4, v9
	s_mov_b32 s4, 0x3f317218
	v_mul_f32_e32 v4, 0x3f317218, v7
	v_fmac_f32_e32 v8, v3, v5
	v_fma_f32 v3, v7, s4, -v4
	v_fmamk_f32 v10, v7, 0xb102e308, v3
	v_ldexp_f32 v11, v2, 1
	v_add_f32_e32 v5, v6, v8
	v_pk_add_f32 v[2:3], v[4:5], v[10:11]
	v_mov_b32_e32 v12, v5
	v_mov_b32_e32 v13, v3
	;; [unrolled: 1-line block ×3, first 2 shown]
	v_pk_add_f32 v[6:7], v[12:13], v[6:7] neg_lo:[0,1] neg_hi:[0,1]
	v_mov_b32_e32 v9, v5
	v_pk_add_f32 v[6:7], v[8:9], v[6:7] neg_lo:[0,1] neg_hi:[0,1]
	v_mov_b32_e32 v11, v2
	v_add_f32_e32 v1, v1, v6
	v_add_f32_e32 v5, v1, v7
	v_pk_add_f32 v[6:7], v[2:3], v[4:5] neg_lo:[0,1] neg_hi:[0,1]
	v_pk_add_f32 v[8:9], v[2:3], v[4:5]
	v_mov_b32_e32 v12, v6
	v_mov_b32_e32 v13, v9
	v_pk_add_f32 v[12:13], v[10:11], v[12:13]
	v_pk_add_f32 v[6:7], v[10:11], v[6:7] neg_lo:[0,1] neg_hi:[0,1]
	v_mov_b32_e32 v4, v13
	v_pk_add_f32 v[14:15], v[4:5], v[2:3] neg_lo:[0,1] neg_hi:[0,1]
	v_mov_b32_e32 v12, v9
	v_mov_b32_e32 v1, v14
	;; [unrolled: 1-line block ×4, first 2 shown]
	v_pk_add_f32 v[16:17], v[8:9], v[0:1] neg_lo:[0,1] neg_hi:[0,1]
	v_pk_add_f32 v[2:3], v[12:13], v[2:3] neg_lo:[0,1] neg_hi:[0,1]
	v_mov_b32_e32 v10, v5
	v_pk_add_f32 v[2:3], v[10:11], v[2:3] neg_lo:[0,1] neg_hi:[0,1]
	v_mov_b32_e32 v16, v6
	v_pk_add_f32 v[8:9], v[16:17], v[2:3]
	v_mov_b32_e32 v7, v13
	v_mov_b32_e32 v10, v9
	v_pk_add_f32 v[10:11], v[8:9], v[10:11]
	s_nop 0
	v_pk_add_f32 v[4:5], v[4:5], v[10:11]
	v_mov_b32_e32 v3, v10
	v_mov_b32_e32 v9, v4
	v_pk_add_f32 v[12:13], v[8:9], v[6:7] neg_lo:[0,1] neg_hi:[0,1]
	s_nop 0
	v_sub_f32_e32 v1, v8, v12
	v_pk_add_f32 v[2:3], v[2:3], v[12:13] neg_lo:[0,1] neg_hi:[0,1]
	v_sub_f32_e32 v1, v6, v1
	v_add_f32_e32 v1, v2, v1
	v_add_f32_e32 v1, v1, v3
	;; [unrolled: 1-line block ×3, first 2 shown]
	v_sub_f32_e32 v3, v2, v4
	v_sub_f32_e32 v1, v1, v3
	v_mul_f32_e32 v3, v19, v2
	v_fma_f32 v2, v19, v2, -v3
	v_fmac_f32_e32 v2, v19, v1
	v_add_f32_e32 v1, v3, v2
	v_cmp_class_f32_e64 s[4:5], v3, s6
	v_sub_f32_e32 v4, v1, v3
	v_sub_f32_e32 v2, v2, v4
	v_cndmask_b32_e64 v1, v1, v3, s[4:5]
	v_mov_b32_e32 v3, 0x37000000
	v_cmp_eq_f32_e64 s[4:5], s8, v1
	s_nop 1
	v_cndmask_b32_e64 v3, 0, v3, s[4:5]
	v_sub_f32_e32 v4, v1, v3
	s_mov_b32 s4, 0x3fb8aa3b
	v_mul_f32_e32 v5, 0x3fb8aa3b, v4
	v_fma_f32 v6, v4, s4, -v5
	v_rndne_f32_e32 v7, v5
	v_fmamk_f32 v6, v4, 0x32a5705f, v6
	v_sub_f32_e32 v5, v5, v7
	v_add_f32_e32 v5, v5, v6
	v_exp_f32_e32 v5, v5
	v_cvt_i32_f32_e32 v6, v7
	v_cmp_neq_f32_e64 s[4:5], |v1|, s7
	s_nop 1
	v_cndmask_b32_e64 v1, 0, v2, s[4:5]
	s_mov_b32 s4, 0xc2ce8ed0
	v_ldexp_f32 v2, v5, v6
	v_cmp_ngt_f32_e64 s[4:5], s4, v4
	v_add_f32_e32 v1, v3, v1
	v_mov_b32_e32 v3, 0x7f800000
	v_cndmask_b32_e64 v2, 0, v2, s[4:5]
	v_cmp_nlt_f32_e64 s[4:5], s8, v4
	v_trunc_f32_e32 v4, v19
	v_mov_b32_e32 v5, 0x7fc00000
	v_cndmask_b32_e64 v2, v3, v2, s[4:5]
	v_fma_f32 v1, v2, v1, v2
	v_cmp_class_f32_e64 s[4:5], v2, s6
	v_cmp_gt_f32_e64 s[8:9], 0, v19
	s_nop 0
	v_cndmask_b32_e64 v1, v1, v2, s[4:5]
	v_cndmask_b32_e64 v2, v18, 1.0, vcc
	v_cmp_eq_f32_e32 vcc, v4, v19
	v_mul_f32_e32 v4, 0.5, v19
	v_trunc_f32_e32 v6, v4
	v_cmp_neq_f32_e64 s[4:5], v6, v4
	s_and_b64 s[4:5], vcc, s[4:5]
	s_nop 0
	v_cndmask_b32_e64 v4, 1.0, v2, s[4:5]
	v_bfi_b32 v1, s14, v1, v4
	v_cndmask_b32_e32 v4, v5, v1, vcc
	v_cmp_gt_f32_e32 vcc, 0, v2
	s_nop 1
	v_cndmask_b32_e32 v1, v1, v4, vcc
	v_cmp_eq_f32_e32 vcc, s7, v20
	v_cmp_eq_f32_e64 s[6:7], 0, v2
	s_xor_b64 s[8:9], s[8:9], s[6:7]
	v_cndmask_b32_e64 v3, v3, 0, s[8:9]
	v_cndmask_b32_e64 v4, 0, v2, s[4:5]
	v_bfi_b32 v3, s14, v3, v4
	s_or_b64 vcc, vcc, s[6:7]
	v_cndmask_b32_e32 v1, v1, v3, vcc
	v_cmp_o_f32_e32 vcc, v2, v2
	s_nop 1
	v_cndmask_b32_e32 v97, v5, v1, vcc
.LBB19_2:
	s_load_dwordx16 s[36:51], s[0:1], 0x0
	s_mov_b32 s4, 0
	s_mov_b32 s5, s4
	v_bfe_u32 v93, v0, 10, 10
	v_and_b32_e32 v92, 0x3ff, v0
	v_mov_b32_e32 v12, 0
	s_mov_b32 s6, s4
	s_mov_b32 s7, s4
	v_mov_b64_e32 v[0:1], s[4:5]
	s_lshl_b32 s33, s2, 1
	v_mov_b64_e32 v[2:3], s[6:7]
	v_mov_b32_e32 v13, v12
	v_mov_b32_e32 v14, v12
	v_cmp_lt_u32_e64 s[16:17], 1, v93
	v_cmp_gt_u32_e32 vcc, 2, v93
	scratch_store_dword off, v12, off
	scratch_store_dwordx4 off, v[0:3], off offset:4
	scratch_store_dwordx4 off, v[0:3], off offset:20
	scratch_store_dwordx4 off, v[0:3], off offset:36
	scratch_store_dwordx3 off, v[12:14], off offset:52
	s_and_saveexec_b64 s[4:5], vcc
	s_cbranch_execz .LBB19_13
; %bb.3:
	v_lshlrev_b32_e32 v5, 8, v93
	v_or_b32_e32 v0, s33, v93
	v_cmp_le_i32_e32 vcc, s18, v0
	v_lshl_add_u32 v4, v92, 2, v5
	s_and_saveexec_b64 s[6:7], vcc
	s_xor_b64 s[6:7], exec, s[6:7]
	s_cbranch_execz .LBB19_7
; %bb.4:
	v_mov_b32_e32 v0, 0
	v_cmp_gt_u32_e32 vcc, 4, v92
	ds_write_b32 v4, v0
	s_and_saveexec_b64 s[8:9], vcc
	s_cbranch_execz .LBB19_6
; %bb.5:
	v_lshl_add_u32 v2, v92, 2, v4
	v_mov_b32_e32 v1, v0
	ds_write_b64 v2, v[0:1] offset:128
.LBB19_6:
	s_or_b64 exec, exec, s[8:9]
                                        ; implicit-def: $vgpr4
                                        ; implicit-def: $vgpr5
.LBB19_7:
	s_andn2_saveexec_b64 s[6:7], s[6:7]
	s_cbranch_execz .LBB19_13
; %bb.8:
	s_load_dwordx4 s[28:31], s[0:1], 0x70
	v_lshlrev_b32_e32 v2, 4, v92
	v_mov_b32_e32 v3, 0
	s_waitcnt lgkmcnt(0)
	s_mul_i32 s6, s64, s30
	s_mul_i32 s8, s33, s28
	;; [unrolled: 1-line block ×3, first 2 shown]
	s_add_i32 s6, s6, s8
	s_add_i32 s6, s6, s7
	s_ashr_i32 s7, s6, 31
	v_mul_lo_u32 v0, v93, s28
	s_add_u32 s6, s36, s6
	v_ashrrev_i32_e32 v1, 31, v0
	s_addc_u32 s7, s37, s7
	v_lshl_add_u64 v[0:1], s[6:7], 0, v[0:1]
	v_lshl_add_u64 v[0:1], v[0:1], 0, v[2:3]
	global_load_dwordx4 v[14:17], v[0:1], off
	v_mbcnt_lo_u32_b32 v0, -1, 0
	v_mbcnt_hi_u32_b32 v2, -1, v0
	v_and_b32_e32 v0, 0x60, v2
	v_xor_b32_e32 v1, 4, v2
	v_add_u32_e32 v10, 32, v0
	v_xor_b32_e32 v6, 2, v2
	v_cmp_lt_i32_e32 vcc, v1, v10
	v_xor_b32_e32 v7, 1, v2
	s_mov_b32 s8, 0x42fe0000
	v_cndmask_b32_e32 v0, v2, v1, vcc
	v_cmp_lt_i32_e32 vcc, v6, v10
	s_waitcnt vmcnt(0)
	v_mul_f32_e32 v9, s12, v14
	v_cndmask_b32_e32 v1, v2, v6, vcc
	v_mov_b32_e32 v14, v17
	v_lshlrev_b32_e32 v6, 2, v0
	v_lshlrev_b32_e32 v11, 2, v1
	v_pk_mul_f32 v[0:1], v[14:15], s[12:13] op_sel_hi:[1,0]
	v_max_f32_e64 v13, |v9|, |v9|
	v_mul_f32_e32 v8, s12, v16
	v_max_f32_e64 v13, v13, |v1|
	v_max3_f32 v13, v13, |v8|, |v0|
	ds_bpermute_b32 v14, v6, v13
	v_add_f32_e32 v15, v1, v9
	v_fmac_f32_e32 v15, s12, v16
	v_add_f32_e32 v15, v0, v15
	ds_bpermute_b32 v6, v6, v15
	s_waitcnt lgkmcnt(1)
	v_max_f32_e32 v14, v14, v14
	v_max_f32_e32 v13, v13, v14
	ds_bpermute_b32 v14, v11, v13
	v_cmp_lt_i32_e32 vcc, v7, v10
	s_waitcnt lgkmcnt(1)
	v_add_f32_e32 v6, v15, v6
	s_waitcnt lgkmcnt(0)
	v_max_f32_e32 v10, v14, v14
	v_cndmask_b32_e32 v2, v2, v7, vcc
	v_lshlrev_b32_e32 v2, 2, v2
	v_max_f32_e32 v10, v13, v10
	ds_bpermute_b32 v7, v11, v6
	ds_bpermute_b32 v11, v2, v10
	s_waitcnt lgkmcnt(1)
	v_add_f32_e32 v6, v6, v7
	s_waitcnt lgkmcnt(0)
	v_max_f32_e32 v7, v11, v11
	v_max_f32_e32 v10, v10, v7
	v_div_scale_f32 v11, s[6:7], s8, s8, v10
	v_rcp_f32_e32 v13, v11
	ds_bpermute_b32 v7, v2, v6
	v_div_scale_f32 v2, vcc, v10, s8, v10
	v_fma_f32 v14, -v11, v13, 1.0
	v_fmac_f32_e32 v13, v14, v13
	v_mul_f32_e32 v14, v2, v13
	v_fma_f32 v15, -v11, v14, v2
	v_fmac_f32_e32 v14, v15, v13
	v_fma_f32 v2, -v11, v14, v2
	v_div_fmas_f32 v2, v2, v13, v14
	v_div_fixup_f32 v2, v2, s8, v10
	v_cmp_neq_f32_e32 vcc, 0, v2
	s_and_saveexec_b64 s[6:7], vcc
	s_cbranch_execz .LBB19_10
; %bb.9:
	v_div_scale_f32 v3, s[8:9], v2, v2, v9
	v_rcp_f32_e32 v10, v3
	v_div_scale_f32 v11, vcc, v9, v2, v9
	s_brev_b32 s12, -2
	v_fma_f32 v13, -v3, v10, 1.0
	v_fmac_f32_e32 v10, v13, v10
	v_mul_f32_e32 v13, v11, v10
	v_fma_f32 v14, -v3, v13, v11
	v_fmac_f32_e32 v13, v14, v10
	v_fma_f32 v3, -v3, v13, v11
	v_div_fmas_f32 v3, v3, v10, v13
	v_div_fixup_f32 v3, v3, v2, v9
	v_trunc_f32_e32 v9, v3
	v_sub_f32_e32 v10, v3, v9
	v_cmp_ge_f32_e64 s[8:9], |v10|, 0.5
	s_nop 1
	v_cndmask_b32_e64 v10, 0, 1.0, s[8:9]
	v_div_scale_f32 v11, s[8:9], v2, v2, v0
	v_rcp_f32_e32 v13, v11
	v_bfi_b32 v3, s12, v10, v3
	v_add_f32_e32 v3, v9, v3
	v_cvt_i32_f32_e32 v3, v3
	v_fma_f32 v9, -v11, v13, 1.0
	v_fmac_f32_e32 v13, v9, v13
	v_div_scale_f32 v9, vcc, v0, v2, v0
	v_mul_f32_e32 v10, v9, v13
	v_fma_f32 v14, -v11, v10, v9
	v_fmac_f32_e32 v10, v14, v13
	v_div_scale_f32 v14, s[8:9], v2, v2, v1
	v_rcp_f32_e32 v15, v14
	v_fma_f32 v9, -v11, v10, v9
	v_div_fmas_f32 v9, v9, v13, v10
	v_div_fixup_f32 v0, v9, v2, v0
	v_fma_f32 v10, -v14, v15, 1.0
	v_fmac_f32_e32 v15, v10, v15
	v_div_scale_f32 v10, vcc, v1, v2, v1
	v_mul_f32_e32 v11, v10, v15
	v_fma_f32 v13, -v14, v11, v10
	v_fmac_f32_e32 v11, v13, v15
	v_div_scale_f32 v13, s[8:9], v2, v2, v8
	v_rcp_f32_e32 v16, v13
	v_fma_f32 v10, -v14, v11, v10
	v_div_fmas_f32 v10, v10, v15, v11
	v_div_fixup_f32 v1, v10, v2, v1
	v_fma_f32 v11, -v13, v16, 1.0
	v_fmac_f32_e32 v16, v11, v16
	v_div_scale_f32 v11, vcc, v8, v2, v8
	v_mul_f32_e32 v14, v11, v16
	v_fma_f32 v15, -v13, v14, v11
	v_fmac_f32_e32 v14, v15, v16
	v_fma_f32 v11, -v13, v14, v11
	v_div_fmas_f32 v11, v11, v16, v14
	v_div_fixup_f32 v8, v11, v2, v8
	v_trunc_f32_e32 v11, v8
	v_sub_f32_e32 v13, v8, v11
	v_trunc_f32_e32 v9, v1
	v_cmp_ge_f32_e64 s[8:9], |v13|, 0.5
	v_sub_f32_e32 v10, v1, v9
	v_and_b32_e32 v3, 0xff, v3
	v_cndmask_b32_e64 v13, 0, 1.0, s[8:9]
	v_cmp_ge_f32_e64 s[8:9], |v10|, 0.5
	v_bfi_b32 v8, s12, v13, v8
	v_add_f32_e32 v8, v11, v8
	v_cndmask_b32_e64 v10, 0, 1.0, s[8:9]
	v_bfi_b32 v1, s12, v10, v1
	v_add_f32_e32 v1, v9, v1
	v_trunc_f32_e32 v9, v0
	v_sub_f32_e32 v10, v0, v9
	v_cmp_ge_f32_e64 s[8:9], |v10|, 0.5
	v_cvt_i32_f32_e32 v8, v8
	v_cvt_i32_f32_e32 v1, v1
	v_cndmask_b32_e64 v10, 0, 1.0, s[8:9]
	v_bfi_b32 v0, s12, v10, v0
	v_add_f32_e32 v0, v9, v0
	v_cvt_i32_f32_e32 v0, v0
	v_and_b32_e32 v8, 0xff, v8
	v_lshlrev_b32_e32 v8, 16, v8
	v_mov_b32_e32 v9, 8
	v_lshlrev_b32_sdwa v1, v9, v1 dst_sel:DWORD dst_unused:UNUSED_PAD src0_sel:DWORD src1_sel:BYTE_0
	v_lshl_or_b32 v0, v0, 24, v8
	v_or3_b32 v3, v0, v1, v3
.LBB19_10:
	s_or_b64 exec, exec, s[6:7]
	v_and_b32_e32 v0, 7, v92
	v_cmp_eq_u32_e32 vcc, 0, v0
	ds_write_b32 v4, v3
	s_and_saveexec_b64 s[6:7], vcc
	s_cbranch_execz .LBB19_12
; %bb.11:
	s_waitcnt lgkmcnt(1)
	v_add_f32_e32 v3, v6, v7
	v_add_u32_e32 v0, v5, v92
	ds_write_b64 v0, v[2:3] offset:128
.LBB19_12:
	s_or_b64 exec, exec, s[6:7]
.LBB19_13:
	s_or_b64 exec, exec, s[4:5]
	v_and_b32_e32 v16, 3, v92
	v_lshlrev_b32_e32 v17, 2, v16
	s_waitcnt lgkmcnt(0)
	s_barrier
	ds_read2_b32 v[36:37], v17 offset1:4
	ds_read2_b32 v[38:39], v17 offset0:8 offset1:12
	ds_read_b128 v[0:3], v12 offset:128
	ds_read_b128 v[4:7], v12 offset:144
	ds_read2_b32 v[40:41], v17 offset0:16 offset1:20
	ds_read2_b32 v[42:43], v17 offset0:24 offset1:28
	;; [unrolled: 1-line block ×5, first 2 shown]
	ds_read_b128 v[8:11], v12 offset:384
	ds_read_b128 v[12:15], v12 offset:400
	ds_read2_b32 v[50:51], v17 offset0:88 offset1:92
	s_cmp_eq_u64 s[46:47], 0
	s_mov_b32 s21, s54
	s_waitcnt lgkmcnt(0)
	s_barrier
	s_cbranch_scc1 .LBB19_15
; %bb.14:
	s_load_dword s4, s[0:1], 0xd0
	s_mov_b32 s5, 0
	s_waitcnt lgkmcnt(0)
	s_mul_i32 s4, s4, s64
	s_add_i32 s4, s4, s2
	s_lshl_b64 s[4:5], s[4:5], 2
	s_add_u32 s4, s46, s4
	s_addc_u32 s5, s47, s5
	s_load_dword s21, s[4:5], 0x0
.LBB19_15:
	v_lshlrev_b32_e32 v99, 5, v93
	s_mov_b32 s4, 0xfeffffff
	v_add_u32_e32 v94, v99, v92
	s_lshl_b32 s22, s3, 7
	s_mov_b32 s5, s4
	v_mov_b32_e32 v33, 0
	s_mov_b32 s25, 0
	s_waitcnt lgkmcnt(0)
	s_cmp_ge_i32 s22, s21
	v_mov_b64_e32 v[34:35], s[4:5]
	v_lshlrev_b32_e32 v96, 2, v92
	v_mbcnt_lo_u32_b32 v98, -1, 0
	v_lshlrev_b32_e32 v95, 1, v94
	v_mov_b32_e32 v32, v33
	s_cbranch_scc1 .LBB19_34
; %bb.16:
	s_sub_i32 s2, 0, s23
	s_load_dwordx2 s[62:63], s[0:1], 0x8c
	s_load_dwordx4 s[12:15], s[0:1], 0x98
	s_sub_i32 s4, 0, s10
	s_mul_i32 s2, s2, s27
	s_mul_i32 s4, s4, s26
	s_mul_hi_u32 s2, s27, s2
	s_mul_hi_u32 s4, s26, s4
	s_abs_i32 s5, s20
	s_add_i32 s27, s27, s2
	s_add_i32 s26, s26, s4
	s_mul_hi_u32 s4, s5, s27
	s_ashr_i32 s8, s20, 31
	s_ashr_i32 s9, s24, 31
	;; [unrolled: 1-line block ×3, first 2 shown]
	s_waitcnt lgkmcnt(0)
	s_mul_i32 s13, s64, s13
	s_mul_i32 s24, s65, s12
	s_xor_b32 s8, s8, s9
	s_mul_i32 s9, s4, s23
	s_mul_hi_u32 s2, s64, s12
	s_add_i32 s66, s13, s24
	s_sub_i32 s5, s5, s9
	s_abs_i32 s6, s64
	s_add_i32 s2, s66, s2
	s_add_i32 s9, s4, 1
	s_sub_i32 s24, s5, s23
	s_cmp_ge_u32 s5, s23
	s_cselect_b32 s4, s9, s4
	s_cselect_b32 s5, s24, s5
	s_add_i32 s9, s4, 1
	s_cmp_ge_u32 s5, s23
	s_cselect_b32 s4, s9, s4
	s_mul_hi_u32 s7, s6, s26
	s_xor_b32 s4, s4, s8
	s_sub_i32 s4, s4, s8
	s_mul_i32 s7, s7, s10
	s_mul_i32 s58, s4, s63
	;; [unrolled: 1-line block ×3, first 2 shown]
	s_sub_i32 s4, s6, s7
	s_ashr_i32 s59, s58, 31
	s_ashr_i32 s57, s56, 31
	s_sub_i32 s5, s4, s10
	s_cmp_ge_u32 s4, s10
	s_cselect_b32 s4, s5, s4
	s_sub_i32 s5, s4, s10
	s_cmp_ge_u32 s4, s10
	s_cselect_b32 s6, s5, s4
	s_load_dwordx2 s[60:61], s[0:1], 0xa8
	s_load_dwordx2 s[4:5], s[0:1], 0xc8
	s_xor_b32 s6, s6, s65
	s_sub_i32 s6, s6, s65
	s_load_dword s8, s[0:1], 0xd4
	s_ashr_i32 s7, s6, 31
	s_waitcnt lgkmcnt(0)
	s_mul_i32 s5, s6, s5
	s_mul_hi_u32 s9, s6, s4
	v_and_b32_e32 v17, 0x7c, v92
	s_add_i32 s5, s9, s5
	s_mul_i32 s7, s7, s4
	s_mul_i32 s26, s33, s11
	v_add_u32_e32 v18, v99, v17
	v_mbcnt_hi_u32_b32 v17, -1, v98
	s_add_i32 s15, s5, s7
	s_ashr_i32 s27, s26, 31
	v_and_b32_e32 v19, 0x7c, v17
	v_add_u32_e32 v19, 4, v19
	v_xor_b32_e32 v20, 2, v17
	s_cmp_lg_u64 s[42:43], 0
	s_mul_i32 s70, s6, s4
	v_cmp_lt_i32_e32 vcc, v20, v19
	s_cselect_b64 s[6:7], -1, 0
	s_lshl_b32 s30, s8, 7
	v_cndmask_b32_e32 v20, v17, v20, vcc
	s_cmp_lt_i32 s33, s18
	v_lshlrev_b32_e32 v100, 2, v20
	v_xor_b32_e32 v20, 1, v17
	s_cselect_b64 s[8:9], -1, 0
	v_cmp_lt_i32_e32 vcc, v20, v19
	s_and_b64 s[46:47], s[6:7], s[8:9]
	s_or_b32 s8, s33, 1
	v_cndmask_b32_e32 v19, v17, v20, vcc
	s_cmp_lt_i32 s8, s18
	v_lshlrev_b32_e32 v101, 2, v19
	v_and_b32_e32 v19, 0x60, v17
	s_cselect_b64 s[8:9], -1, 0
	v_add_u32_e32 v19, 32, v19
	v_cmp_eq_u32_e64 s[4:5], 0, v16
	s_and_b64 s[52:53], s[6:7], s[8:9]
	v_cmp_eq_u32_e64 s[6:7], 1, v16
	v_cmp_eq_u32_e64 s[8:9], 2, v16
	;; [unrolled: 1-line block ×3, first 2 shown]
	v_xor_b32_e32 v16, 4, v17
	v_cmp_lt_i32_e32 vcc, v16, v19
	v_lshrrev_b32_e32 v30, 3, v92
	v_mov_b32_e32 v33, 0
	v_cndmask_b32_e32 v16, v17, v16, vcc
	v_lshlrev_b32_e32 v102, 2, v16
	v_xor_b32_e32 v16, 8, v17
	v_cmp_lt_i32_e32 vcc, v16, v19
	v_mul_lo_u32 v20, v18, s62
	v_add_u32_e32 v24, s62, v20
	v_cndmask_b32_e32 v16, v17, v16, vcc
	v_lshlrev_b32_e32 v103, 2, v16
	v_xor_b32_e32 v16, 16, v17
	v_cmp_lt_i32_e32 vcc, v16, v19
	v_add_u32_e32 v88, v99, v30
	s_ashr_i32 s55, s54, 31
	v_cndmask_b32_e32 v16, v17, v16, vcc
	v_lshlrev_b32_e32 v104, 2, v16
	v_or_b32_e32 v16, v99, v30
	v_lshlrev_b32_e32 v105, 1, v16
	v_mov_b32_e32 v16, 0x100
	v_mov_b32_e32 v19, v33
	v_and_b32_e32 v32, 12, v96
	v_add_u32_e32 v26, s62, v24
	v_lshl_add_u32 v106, v88, 1, v16
	v_lshl_add_u64 v[16:17], v[18:19], 0, s[54:55]
	v_mov_b32_e32 v19, s12
	s_mov_b32 s23, s25
	s_mul_i32 s28, s22, s62
	s_mul_i32 s34, s30, s62
	v_add_u32_e32 v22, s54, v18
	v_add_u32_e32 v28, s62, v26
	v_mad_u64_u32 v[30:31], s[54:55], s64, v19, v[32:33]
	s_add_u32 s62, s38, s58
	v_add_u32_e32 v31, s66, v31
	s_addc_u32 s63, s39, s59
	s_lshl_b64 s[66:67], s[22:23], 1
	s_mul_i32 s13, s64, s12
	s_add_u32 s12, s42, s66
	s_addc_u32 s23, s43, s67
	s_mov_b32 s31, s25
	s_add_u32 s68, s12, s70
	s_addc_u32 s69, s23, s15
	s_lshl_b64 s[54:55], s[30:31], 1
	s_add_u32 s12, s70, s66
	v_ashrrev_i32_e32 v25, 31, v24
	s_addc_u32 s15, s15, s67
	s_add_u32 s42, s42, s12
	v_lshl_add_u64 v[62:63], v[16:17], 1, s[68:69]
	v_lshl_add_u64 v[16:17], v[30:31], 0, v[24:25]
	v_lshlrev_b32_e32 v32, 1, v18
	s_addc_u32 s43, s43, s15
	v_lshl_add_u64 v[66:67], s[62:63], 0, v[16:17]
	v_and_b32_e32 v16, 7, v92
	v_lshl_add_u64 v[56:57], s[42:43], 0, v[32:33]
	s_add_u32 s42, s62, s13
	v_lshlrev_b32_e32 v32, 4, v16
	s_mul_i32 s12, s64, s61
	s_mul_i32 s65, s65, s60
	v_mov_b32_e32 v16, s60
	v_ashrrev_i32_e32 v23, 31, v22
	v_ashrrev_i32_e32 v27, 31, v26
	s_addc_u32 s43, s63, s2
	s_add_i32 s12, s12, s65
	v_mad_u64_u32 v[16:17], s[60:61], s64, v16, v[32:33]
	v_lshl_add_u64 v[54:55], v[22:23], 1, s[68:69]
	v_lshl_add_u64 v[18:19], v[30:31], 0, v[26:27]
	v_add_u32_e32 v17, s12, v17
	v_mul_lo_u32 v22, s14, v88
	v_lshl_add_u64 v[60:61], s[62:63], 0, v[18:19]
	v_lshl_add_u64 v[18:19], v[16:17], 0, s[56:57]
	v_ashrrev_i32_e32 v23, 31, v22
	s_add_u32 s12, s13, s58
	v_lshl_add_u64 v[18:19], v[18:19], 0, v[22:23]
	s_addc_u32 s2, s2, s59
	v_ashrrev_i32_e32 v21, 31, v20
	v_lshl_add_u64 v[68:69], s[40:41], 0, v[18:19]
	v_lshl_add_u64 v[18:19], v[30:31], 0, s[58:59]
	s_add_u32 s12, s38, s12
	v_lshl_add_u64 v[18:19], v[18:19], 0, v[20:21]
	s_addc_u32 s13, s39, s2
	v_lshl_add_u64 v[72:73], s[38:39], 0, v[18:19]
	v_lshl_add_u64 v[18:19], s[12:13], 0, v[20:21]
	;; [unrolled: 1-line block ×3, first 2 shown]
	v_add_u32_e32 v18, 4, v88
	v_mul_lo_u32 v18, s14, v18
	v_ashrrev_i32_e32 v19, 31, v18
	s_add_u32 s12, s40, s56
	v_lshl_add_u64 v[18:19], v[16:17], 0, v[18:19]
	s_addc_u32 s13, s41, s57
	v_lshl_add_u64 v[76:77], s[12:13], 0, v[18:19]
	v_add_u32_e32 v18, 28, v88
	v_mul_lo_u32 v18, s14, v18
	v_ashrrev_i32_e32 v19, 31, v18
	v_lshl_add_u64 v[18:19], v[16:17], 0, v[18:19]
	v_lshl_add_u64 v[78:79], s[12:13], 0, v[18:19]
	v_add_u32_e32 v18, 8, v88
	v_mul_lo_u32 v18, s14, v18
	v_ashrrev_i32_e32 v19, 31, v18
	v_lshl_add_u64 v[18:19], v[16:17], 0, v[18:19]
	;; [unrolled: 5-line block ×5, first 2 shown]
	v_lshl_add_u64 v[86:87], s[12:13], 0, v[18:19]
	v_add_u32_e32 v18, 20, v88
	v_mul_lo_u32 v18, s14, v18
	v_ashrrev_i32_e32 v29, 31, v28
	v_ashrrev_i32_e32 v19, 31, v18
	v_lshl_add_u64 v[34:35], v[30:31], 0, v[28:29]
	v_lshl_add_u64 v[16:17], v[16:17], 0, v[18:19]
	;; [unrolled: 1-line block ×4, first 2 shown]
	s_mov_b64 s[12:13], 0x80
	v_mov_b32_e32 v34, 0xfeffffff
	s_mul_i32 s24, s22, s14
	s_mov_b32 s29, s25
	s_mov_b32 s35, s25
	s_mul_i32 s36, s30, s14
	s_mov_b32 s37, s25
	v_lshl_add_u64 v[58:59], s[42:43], 0, v[28:29]
	v_lshl_add_u64 v[64:65], s[42:43], 0, v[26:27]
	;; [unrolled: 1-line block ×4, first 2 shown]
	s_mov_b32 s2, 0x3fb8aa3b
	s_mov_b32 s23, 0xc2ce8ed0
	;; [unrolled: 1-line block ×3, first 2 shown]
	v_mov_b32_e32 v107, 0x7f800000
	v_mov_b32_e32 v32, v33
	;; [unrolled: 1-line block ×3, first 2 shown]
                                        ; implicit-def: $vgpr90
	s_branch .LBB19_18
.LBB19_17:                              ;   in Loop: Header=BB19_18 Depth=1
	v_cndmask_b32_e64 v17, v90, v20, s[4:5]
	v_add_f32_e32 v19, 0x40051340, v20
	v_add_f32_e32 v20, 0x40051340, v22
	v_cndmask_b32_e64 v18, v91, v21, s[4:5]
	v_cndmask_b32_e64 v17, v17, v22, s[6:7]
	v_max3_f32 v19, v34, v19, v20
	v_add_f32_e32 v20, 0x40051340, v24
	v_add_f32_e32 v22, 0x40051340, v26
	v_cndmask_b32_e64 v18, v18, v23, s[6:7]
	v_max3_f32 v28, v19, v20, v22
	v_add_f32_e32 v19, 0x40051340, v21
	v_add_f32_e32 v20, 0x40051340, v23
	v_cndmask_b32_e64 v17, v17, v24, s[8:9]
	v_cndmask_b32_e64 v18, v18, v25, s[8:9]
	v_max3_f32 v19, v35, v19, v20
	v_add_f32_e32 v20, 0x40051340, v25
	v_add_f32_e32 v21, 0x40051340, v16
	v_max3_f32 v29, v19, v20, v21
	v_cndmask_b32_e64 v27, v18, v16, s[10:11]
	v_cndmask_b32_e64 v26, v17, v26, s[10:11]
	scratch_load_dwordx4 v[16:19], off, off
	scratch_load_dwordx4 v[20:23], off, off offset:16
	ds_bpermute_b32 v31, v102, v29
	ds_bpermute_b32 v30, v102, v28
	v_mov_b32_e32 v25, v35
	v_mov_b32_e32 v24, v34
	s_add_i32 s22, s22, s30
	s_waitcnt lgkmcnt(1)
	v_max_f32_e32 v31, v31, v31
	v_max_f32_e32 v29, v29, v31
	s_waitcnt lgkmcnt(0)
	v_max_f32_e32 v30, v30, v30
	v_max_f32_e32 v28, v28, v30
	ds_bpermute_b32 v31, v103, v29
	ds_bpermute_b32 v30, v103, v28
	v_lshl_add_u64 v[52:53], v[52:53], 0, s[34:35]
	v_lshl_add_u64 v[54:55], v[54:55], 0, s[54:55]
	;; [unrolled: 1-line block ×3, first 2 shown]
	s_waitcnt lgkmcnt(1)
	v_max_f32_e32 v31, v31, v31
	v_max_f32_e32 v29, v29, v31
	s_waitcnt lgkmcnt(0)
	v_max_f32_e32 v30, v30, v30
	v_max_f32_e32 v28, v28, v30
	ds_bpermute_b32 v31, v104, v29
	ds_bpermute_b32 v30, v104, v28
	v_lshl_add_u64 v[58:59], v[58:59], 0, s[34:35]
	v_lshl_add_u64 v[60:61], v[60:61], 0, s[34:35]
	;; [unrolled: 1-line block ×3, first 2 shown]
	s_waitcnt lgkmcnt(1)
	v_max_f32_e32 v31, v31, v31
	v_max_f32_e32 v35, v29, v31
	s_waitcnt lgkmcnt(0)
	v_max_f32_e32 v29, v30, v30
	v_max_f32_e32 v34, v28, v29
	v_pk_add_f32 v[26:27], v[26:27], v[34:35] neg_lo:[0,1] neg_hi:[0,1]
	v_pk_add_f32 v[24:25], v[24:25], v[34:35] neg_lo:[0,1] neg_hi:[0,1]
	v_mul_f32_e32 v28, 0x3fb8aa3b, v27
	v_fma_f32 v29, v27, s2, -v28
	v_rndne_f32_e32 v30, v28
	v_fmac_f32_e32 v29, 0x32a5705f, v27
	v_sub_f32_e32 v28, v28, v30
	v_add_f32_e32 v28, v28, v29
	v_exp_f32_e32 v28, v28
	v_cvt_i32_f32_e32 v29, v30
	v_cmp_ngt_f32_e32 vcc, s23, v27
	v_lshl_add_u64 v[30:31], v[68:69], 0, s[24:25]
	v_lshl_add_u64 v[64:65], v[64:65], 0, s[34:35]
	v_ldexp_f32 v28, v28, v29
	v_cndmask_b32_e32 v28, 0, v28, vcc
	v_cmp_nlt_f32_e32 vcc, s31, v27
	v_mul_f32_e32 v27, 0x3fb8aa3b, v26
	v_rndne_f32_e32 v29, v27
	v_cndmask_b32_e32 v91, v107, v28, vcc
	v_fma_f32 v28, v26, s2, -v27
	v_fmac_f32_e32 v28, 0x32a5705f, v26
	v_sub_f32_e32 v27, v27, v29
	v_add_f32_e32 v27, v27, v28
	v_exp_f32_e32 v27, v27
	v_cvt_i32_f32_e32 v28, v29
	v_cmp_ngt_f32_e32 vcc, s23, v26
	v_lshl_add_u64 v[66:67], v[66:67], 0, s[34:35]
	v_lshl_add_u64 v[68:69], v[68:69], 0, s[36:37]
	v_ldexp_f32 v27, v27, v28
	v_cndmask_b32_e32 v27, 0, v27, vcc
	v_cmp_nlt_f32_e32 vcc, s31, v26
	v_lshl_add_u64 v[70:71], v[70:71], 0, s[34:35]
	v_lshl_add_u64 v[72:73], v[72:73], 0, s[34:35]
	v_cndmask_b32_e32 v90, v107, v27, vcc
	v_cvt_f16_f32_e32 v26, v90
	v_cmp_ngt_f32_e32 vcc, s23, v25
	v_lshl_add_u64 v[74:75], v[74:75], 0, s[34:35]
	s_cmp_ge_i32 s22, s21
	ds_write_b16 v95, v26
	v_mul_f32_e32 v26, 0x3fb8aa3b, v25
	v_fma_f32 v27, v25, s2, -v26
	v_rndne_f32_e32 v28, v26
	v_fmac_f32_e32 v27, 0x32a5705f, v25
	v_sub_f32_e32 v26, v26, v28
	v_add_f32_e32 v26, v26, v27
	v_exp_f32_e32 v26, v26
	v_cvt_i32_f32_e32 v27, v28
	v_ldexp_f32 v26, v26, v27
	v_cndmask_b32_e32 v26, 0, v26, vcc
	v_cmp_nlt_f32_e32 vcc, s31, v25
	s_nop 1
	v_cndmask_b32_e32 v25, v107, v26, vcc
	v_mul_f32_e32 v26, 0x3fb8aa3b, v24
	v_fma_f32 v27, v24, s2, -v26
	v_rndne_f32_e32 v28, v26
	v_fmac_f32_e32 v27, 0x32a5705f, v24
	v_sub_f32_e32 v26, v26, v28
	v_add_f32_e32 v26, v26, v27
	v_exp_f32_e32 v26, v26
	v_cvt_i32_f32_e32 v27, v28
	v_cmp_ngt_f32_e32 vcc, s23, v24
	v_cvt_f16_f32_e32 v28, v25
	v_ldexp_f32 v26, v26, v27
	v_cndmask_b32_e32 v26, 0, v26, vcc
	v_cmp_nlt_f32_e32 vcc, s31, v24
	s_nop 1
	v_cndmask_b32_e32 v24, v107, v26, vcc
	v_cvt_f16_f32_e32 v26, v24
	v_pk_fma_f32 v[32:33], v[32:33], v[24:25], v[90:91]
	s_waitcnt vmcnt(1)
	v_pk_mul_f16 v108, v26, v16 op_sel_hi:[0,1]
	s_waitcnt vmcnt(0)
	v_pk_mul_f16 v16, v26, v20 op_sel_hi:[0,1]
	v_cvt_f16_f32_e32 v20, v91
	v_pk_mul_f16 v109, v26, v17 op_sel_hi:[0,1]
	v_pk_mul_f16 v110, v26, v18 op_sel_hi:[0,1]
	;; [unrolled: 1-line block ×6, first 2 shown]
	ds_write_b16 v95, v20 offset:256
	scratch_load_dwordx4 v[20:23], off, off offset:32
	scratch_load_dwordx4 v[24:27], off, off offset:48
	ds_read_u16 v112, v105 offset:256
	scratch_store_dwordx4 off, v[16:19], off offset:16
	s_waitcnt vmcnt(2)
	v_pk_mul_f16 v20, v28, v20 op_sel_hi:[0,1]
	s_waitcnt vmcnt(1)
	v_pk_mul_f16 v24, v28, v24 op_sel_hi:[0,1]
	v_pk_mul_f16 v25, v28, v25 op_sel_hi:[0,1]
	;; [unrolled: 1-line block ×7, first 2 shown]
	scratch_store_dwordx4 off, v[24:27], off offset:48
	global_load_dwordx4 v[26:29], v[30:31], off
	s_waitcnt vmcnt(0)
	v_lshlrev_b32_e32 v113, 16, v26
	v_and_b32_e32 v26, 0xffff0000, v26
	v_cvt_f16_f32_e32 v26, v26
	v_cvt_f16_f32_e32 v113, v113
	scratch_store_dwordx4 off, v[20:23], off offset:32
	ds_read_u16 v117, v105
	ds_read_u16 v118, v105 offset:8
	v_pack_b32_f16 v113, v113, v26
	v_lshlrev_b32_e32 v26, 16, v27
	v_and_b32_e32 v27, 0xffff0000, v27
	v_cvt_f16_f32_e32 v27, v27
	v_cvt_f16_f32_e32 v26, v26
	s_waitcnt lgkmcnt(2)
	v_pk_fma_f16 v20, v112, v113, v20 op_sel_hi:[0,1,1]
	v_pack_b32_f16 v114, v26, v27
	v_lshlrev_b32_e32 v26, 16, v28
	v_and_b32_e32 v27, 0xffff0000, v28
	v_cvt_f16_f32_e32 v27, v27
	v_cvt_f16_f32_e32 v26, v26
	v_pk_fma_f16 v21, v112, v114, v21 op_sel_hi:[0,1,1]
	v_pack_b32_f16 v115, v26, v27
	v_lshlrev_b32_e32 v26, 16, v29
	v_and_b32_e32 v27, 0xffff0000, v29
	v_cvt_f16_f32_e32 v27, v27
	v_cvt_f16_f32_e32 v26, v26
	s_waitcnt lgkmcnt(1)
	v_pk_fma_f16 v28, v117, v115, v110 op_sel_hi:[0,1,1]
	v_pk_fma_f16 v22, v112, v115, v22 op_sel_hi:[0,1,1]
	v_pack_b32_f16 v116, v26, v27
	v_pk_fma_f16 v26, v117, v113, v108 op_sel_hi:[0,1,1]
	v_pk_fma_f16 v27, v117, v114, v109 op_sel_hi:[0,1,1]
	;; [unrolled: 1-line block ×3, first 2 shown]
	global_load_dwordx4 v[108:111], v[30:31], off offset:128
	v_pk_fma_f16 v23, v112, v116, v23 op_sel_hi:[0,1,1]
	ds_read_u16 v116, v106 offset:8
	scratch_store_dwordx4 off, v[26:29], off
	scratch_store_dwordx4 off, v[20:23], off offset:32
	s_waitcnt vmcnt(2)
	v_lshlrev_b32_e32 v30, 16, v108
	v_and_b32_e32 v31, 0xffff0000, v108
	v_cvt_f16_f32_e32 v31, v31
	v_cvt_f16_f32_e32 v30, v30
	v_and_b32_e32 v108, 0xffff0000, v109
	v_cvt_f16_f32_e32 v108, v108
	v_pack_b32_f16 v30, v30, v31
	v_lshlrev_b32_e32 v31, 16, v109
	v_cvt_f16_f32_e32 v31, v31
	v_and_b32_e32 v109, 0xffff0000, v110
	v_cvt_f16_f32_e32 v109, v109
	v_pk_fma_f16 v16, v117, v30, v16 op_sel_hi:[0,1,1]
	v_pack_b32_f16 v31, v31, v108
	v_lshlrev_b32_e32 v108, 16, v110
	v_cvt_f16_f32_e32 v108, v108
	v_pk_fma_f16 v17, v117, v31, v17 op_sel_hi:[0,1,1]
	v_pack_b32_f16 v110, v108, v109
	v_lshlrev_b32_e32 v108, 16, v111
	v_and_b32_e32 v109, 0xffff0000, v111
	v_cvt_f16_f32_e32 v109, v109
	v_cvt_f16_f32_e32 v108, v108
	v_pk_fma_f16 v18, v117, v110, v18 op_sel_hi:[0,1,1]
	v_pack_b32_f16 v111, v108, v109
	v_pk_fma_f16 v108, v112, v30, v24 op_sel_hi:[0,1,1]
	v_pk_fma_f16 v109, v112, v31, v25 op_sel_hi:[0,1,1]
	scratch_load_dwordx2 v[24:25], off, off offset:56
	v_lshl_add_u64 v[30:31], v[76:77], 0, s[24:25]
	v_pk_fma_f16 v19, v117, v111, v19 op_sel_hi:[0,1,1]
	scratch_store_dwordx4 off, v[16:19], off offset:16
	v_lshl_add_u64 v[76:77], v[76:77], 0, s[36:37]
	s_waitcnt vmcnt(1)
	v_pk_fma_f16 v110, v112, v110, v24 op_sel_hi:[0,1,1]
	v_pk_fma_f16 v111, v112, v111, v25 op_sel_hi:[0,1,1]
	global_load_dwordx4 v[112:115], v[30:31], off
	s_waitcnt vmcnt(0)
	v_lshlrev_b32_e32 v24, 16, v112
	v_and_b32_e32 v25, 0xffff0000, v112
	v_cvt_f16_f32_e32 v25, v25
	v_cvt_f16_f32_e32 v24, v24
	v_and_b32_e32 v112, 0xffff0000, v113
	v_cvt_f16_f32_e32 v112, v112
	scratch_store_dwordx4 off, v[108:111], off offset:48
	v_pack_b32_f16 v25, v24, v25
	v_lshlrev_b32_e32 v24, 16, v113
	v_cvt_f16_f32_e32 v24, v24
	v_and_b32_e32 v113, 0xffff0000, v114
	v_cvt_f16_f32_e32 v113, v113
	s_waitcnt lgkmcnt(0)
	v_pk_fma_f16 v20, v116, v25, v20 op_sel_hi:[0,1,1]
	v_pack_b32_f16 v112, v24, v112
	v_lshlrev_b32_e32 v24, 16, v114
	v_cvt_f16_f32_e32 v24, v24
	v_and_b32_e32 v114, 0xffff0000, v115
	v_cvt_f16_f32_e32 v114, v114
	v_pk_fma_f16 v21, v116, v112, v21 op_sel_hi:[0,1,1]
	v_pack_b32_f16 v113, v24, v113
	v_lshlrev_b32_e32 v24, 16, v115
	v_cvt_f16_f32_e32 v24, v24
	v_pk_fma_f16 v22, v116, v113, v22 op_sel_hi:[0,1,1]
	v_pack_b32_f16 v114, v24, v114
	v_pk_fma_f16 v24, v118, v25, v26 op_sel_hi:[0,1,1]
	v_pk_fma_f16 v25, v118, v112, v27 op_sel_hi:[0,1,1]
	;; [unrolled: 1-line block ×4, first 2 shown]
	global_load_dwordx4 v[28:31], v[30:31], off offset:128
	v_pk_fma_f16 v23, v116, v114, v23 op_sel_hi:[0,1,1]
	scratch_store_dwordx4 off, v[24:27], off
	scratch_store_dwordx4 off, v[20:23], off offset:32
	s_waitcnt vmcnt(2)
	v_lshlrev_b32_e32 v112, 16, v28
	v_and_b32_e32 v28, 0xffff0000, v28
	v_cvt_f16_f32_e32 v28, v28
	v_cvt_f16_f32_e32 v112, v112
	v_pack_b32_f16 v28, v112, v28
	v_lshlrev_b32_e32 v112, 16, v29
	v_and_b32_e32 v29, 0xffff0000, v29
	v_cvt_f16_f32_e32 v29, v29
	v_cvt_f16_f32_e32 v112, v112
	v_pk_fma_f16 v16, v118, v28, v16 op_sel_hi:[0,1,1]
	v_pk_fma_f16 v28, v116, v28, v108 op_sel_hi:[0,1,1]
	v_pack_b32_f16 v29, v112, v29
	v_lshlrev_b32_e32 v112, 16, v30
	v_and_b32_e32 v30, 0xffff0000, v30
	v_cvt_f16_f32_e32 v30, v30
	v_cvt_f16_f32_e32 v112, v112
	v_pk_fma_f16 v17, v118, v29, v17 op_sel_hi:[0,1,1]
	v_pk_fma_f16 v29, v116, v29, v109 op_sel_hi:[0,1,1]
	;; [unrolled: 7-line block ×3, first 2 shown]
	v_pack_b32_f16 v31, v112, v31
	v_pk_fma_f16 v19, v118, v31, v19 op_sel_hi:[0,1,1]
	v_pk_fma_f16 v31, v116, v31, v111 op_sel_hi:[0,1,1]
	scratch_store_dwordx4 off, v[16:19], off offset:16
	scratch_store_dwordx4 off, v[28:31], off offset:48
	v_lshl_add_u64 v[112:113], v[80:81], 0, s[24:25]
	ds_read_u16 v114, v105 offset:16
	ds_read_u16 v115, v106 offset:16
	global_load_dwordx4 v[108:111], v[112:113], off
	v_lshl_add_u64 v[80:81], v[80:81], 0, s[36:37]
	s_waitcnt vmcnt(0)
	v_lshlrev_b32_e32 v116, 16, v108
	v_and_b32_e32 v108, 0xffff0000, v108
	v_cvt_f16_f32_e32 v108, v108
	v_cvt_f16_f32_e32 v116, v116
	v_pack_b32_f16 v108, v116, v108
	v_lshlrev_b32_e32 v116, 16, v109
	v_and_b32_e32 v109, 0xffff0000, v109
	v_cvt_f16_f32_e32 v109, v109
	v_cvt_f16_f32_e32 v116, v116
	s_waitcnt lgkmcnt(1)
	v_pk_fma_f16 v24, v114, v108, v24 op_sel_hi:[0,1,1]
	s_waitcnt lgkmcnt(0)
	v_pk_fma_f16 v20, v115, v108, v20 op_sel_hi:[0,1,1]
	v_pack_b32_f16 v109, v116, v109
	v_lshlrev_b32_e32 v116, 16, v110
	v_and_b32_e32 v110, 0xffff0000, v110
	v_cvt_f16_f32_e32 v110, v110
	v_cvt_f16_f32_e32 v116, v116
	v_pk_fma_f16 v25, v114, v109, v25 op_sel_hi:[0,1,1]
	v_pk_fma_f16 v21, v115, v109, v21 op_sel_hi:[0,1,1]
	v_pack_b32_f16 v110, v116, v110
	v_lshlrev_b32_e32 v116, 16, v111
	v_and_b32_e32 v111, 0xffff0000, v111
	v_cvt_f16_f32_e32 v111, v111
	v_cvt_f16_f32_e32 v116, v116
	v_pk_fma_f16 v26, v114, v110, v26 op_sel_hi:[0,1,1]
	v_pk_fma_f16 v22, v115, v110, v22 op_sel_hi:[0,1,1]
	v_pack_b32_f16 v111, v116, v111
	v_pk_fma_f16 v27, v114, v111, v27 op_sel_hi:[0,1,1]
	v_pk_fma_f16 v23, v115, v111, v23 op_sel_hi:[0,1,1]
	global_load_dwordx4 v[108:111], v[112:113], off offset:128
	s_waitcnt vmcnt(0)
	v_lshlrev_b32_e32 v112, 16, v108
	v_and_b32_e32 v108, 0xffff0000, v108
	v_cvt_f16_f32_e32 v108, v108
	v_cvt_f16_f32_e32 v112, v112
	scratch_store_dwordx4 off, v[24:27], off
	scratch_store_dwordx4 off, v[20:23], off offset:32
	v_pack_b32_f16 v108, v112, v108
	v_lshlrev_b32_e32 v112, 16, v109
	v_and_b32_e32 v109, 0xffff0000, v109
	v_cvt_f16_f32_e32 v109, v109
	v_cvt_f16_f32_e32 v112, v112
	v_pk_fma_f16 v16, v114, v108, v16 op_sel_hi:[0,1,1]
	v_pk_fma_f16 v28, v115, v108, v28 op_sel_hi:[0,1,1]
	v_pack_b32_f16 v109, v112, v109
	v_lshlrev_b32_e32 v112, 16, v110
	v_and_b32_e32 v110, 0xffff0000, v110
	v_cvt_f16_f32_e32 v110, v110
	v_cvt_f16_f32_e32 v112, v112
	v_pk_fma_f16 v17, v114, v109, v17 op_sel_hi:[0,1,1]
	v_pk_fma_f16 v29, v115, v109, v29 op_sel_hi:[0,1,1]
	;; [unrolled: 7-line block ×3, first 2 shown]
	v_pack_b32_f16 v111, v112, v111
	v_pk_fma_f16 v19, v114, v111, v19 op_sel_hi:[0,1,1]
	v_pk_fma_f16 v31, v115, v111, v31 op_sel_hi:[0,1,1]
	scratch_store_dwordx4 off, v[16:19], off offset:16
	scratch_store_dwordx4 off, v[28:31], off offset:48
	v_lshl_add_u64 v[112:113], v[82:83], 0, s[24:25]
	ds_read_u16 v114, v105 offset:24
	ds_read_u16 v115, v106 offset:24
	global_load_dwordx4 v[108:111], v[112:113], off
	v_lshl_add_u64 v[82:83], v[82:83], 0, s[36:37]
	s_waitcnt vmcnt(0)
	v_lshlrev_b32_e32 v116, 16, v108
	v_and_b32_e32 v108, 0xffff0000, v108
	v_cvt_f16_f32_e32 v108, v108
	v_cvt_f16_f32_e32 v116, v116
	v_pack_b32_f16 v108, v116, v108
	v_lshlrev_b32_e32 v116, 16, v109
	v_and_b32_e32 v109, 0xffff0000, v109
	v_cvt_f16_f32_e32 v109, v109
	v_cvt_f16_f32_e32 v116, v116
	s_waitcnt lgkmcnt(1)
	v_pk_fma_f16 v24, v114, v108, v24 op_sel_hi:[0,1,1]
	s_waitcnt lgkmcnt(0)
	v_pk_fma_f16 v20, v115, v108, v20 op_sel_hi:[0,1,1]
	v_pack_b32_f16 v109, v116, v109
	v_lshlrev_b32_e32 v116, 16, v110
	v_and_b32_e32 v110, 0xffff0000, v110
	v_cvt_f16_f32_e32 v110, v110
	v_cvt_f16_f32_e32 v116, v116
	v_pk_fma_f16 v25, v114, v109, v25 op_sel_hi:[0,1,1]
	v_pk_fma_f16 v21, v115, v109, v21 op_sel_hi:[0,1,1]
	v_pack_b32_f16 v110, v116, v110
	v_lshlrev_b32_e32 v116, 16, v111
	v_and_b32_e32 v111, 0xffff0000, v111
	v_cvt_f16_f32_e32 v111, v111
	v_cvt_f16_f32_e32 v116, v116
	v_pk_fma_f16 v26, v114, v110, v26 op_sel_hi:[0,1,1]
	v_pk_fma_f16 v22, v115, v110, v22 op_sel_hi:[0,1,1]
	v_pack_b32_f16 v111, v116, v111
	v_pk_fma_f16 v27, v114, v111, v27 op_sel_hi:[0,1,1]
	v_pk_fma_f16 v23, v115, v111, v23 op_sel_hi:[0,1,1]
	global_load_dwordx4 v[108:111], v[112:113], off offset:128
	s_waitcnt vmcnt(0)
	v_lshlrev_b32_e32 v112, 16, v108
	v_and_b32_e32 v108, 0xffff0000, v108
	v_cvt_f16_f32_e32 v108, v108
	v_cvt_f16_f32_e32 v112, v112
	scratch_store_dwordx4 off, v[24:27], off
	scratch_store_dwordx4 off, v[20:23], off offset:32
	v_pack_b32_f16 v108, v112, v108
	v_lshlrev_b32_e32 v112, 16, v109
	v_and_b32_e32 v109, 0xffff0000, v109
	v_cvt_f16_f32_e32 v109, v109
	v_cvt_f16_f32_e32 v112, v112
	v_pk_fma_f16 v16, v114, v108, v16 op_sel_hi:[0,1,1]
	v_pk_fma_f16 v28, v115, v108, v28 op_sel_hi:[0,1,1]
	v_pack_b32_f16 v109, v112, v109
	v_lshlrev_b32_e32 v112, 16, v110
	v_and_b32_e32 v110, 0xffff0000, v110
	v_cvt_f16_f32_e32 v110, v110
	v_cvt_f16_f32_e32 v112, v112
	v_pk_fma_f16 v17, v114, v109, v17 op_sel_hi:[0,1,1]
	v_pk_fma_f16 v29, v115, v109, v29 op_sel_hi:[0,1,1]
	;; [unrolled: 7-line block ×3, first 2 shown]
	v_pack_b32_f16 v111, v112, v111
	v_pk_fma_f16 v19, v114, v111, v19 op_sel_hi:[0,1,1]
	v_pk_fma_f16 v31, v115, v111, v31 op_sel_hi:[0,1,1]
	scratch_store_dwordx4 off, v[16:19], off offset:16
	scratch_store_dwordx4 off, v[28:31], off offset:48
	v_lshl_add_u64 v[112:113], v[86:87], 0, s[24:25]
	ds_read_u16 v114, v105 offset:32
	ds_read_u16 v115, v105 offset:288
	global_load_dwordx4 v[108:111], v[112:113], off
	v_lshl_add_u64 v[86:87], v[86:87], 0, s[36:37]
	s_waitcnt vmcnt(0)
	v_lshlrev_b32_e32 v116, 16, v108
	v_and_b32_e32 v108, 0xffff0000, v108
	v_cvt_f16_f32_e32 v108, v108
	v_cvt_f16_f32_e32 v116, v116
	v_pack_b32_f16 v108, v116, v108
	v_lshlrev_b32_e32 v116, 16, v109
	v_and_b32_e32 v109, 0xffff0000, v109
	v_cvt_f16_f32_e32 v109, v109
	v_cvt_f16_f32_e32 v116, v116
	s_waitcnt lgkmcnt(1)
	v_pk_fma_f16 v24, v114, v108, v24 op_sel_hi:[0,1,1]
	s_waitcnt lgkmcnt(0)
	v_pk_fma_f16 v20, v115, v108, v20 op_sel_hi:[0,1,1]
	v_pack_b32_f16 v109, v116, v109
	v_lshlrev_b32_e32 v116, 16, v110
	v_and_b32_e32 v110, 0xffff0000, v110
	v_cvt_f16_f32_e32 v110, v110
	v_cvt_f16_f32_e32 v116, v116
	v_pk_fma_f16 v25, v114, v109, v25 op_sel_hi:[0,1,1]
	v_pk_fma_f16 v21, v115, v109, v21 op_sel_hi:[0,1,1]
	v_pack_b32_f16 v110, v116, v110
	v_lshlrev_b32_e32 v116, 16, v111
	v_and_b32_e32 v111, 0xffff0000, v111
	v_cvt_f16_f32_e32 v111, v111
	v_cvt_f16_f32_e32 v116, v116
	v_pk_fma_f16 v26, v114, v110, v26 op_sel_hi:[0,1,1]
	v_pk_fma_f16 v22, v115, v110, v22 op_sel_hi:[0,1,1]
	v_pack_b32_f16 v111, v116, v111
	v_pk_fma_f16 v27, v114, v111, v27 op_sel_hi:[0,1,1]
	v_pk_fma_f16 v23, v115, v111, v23 op_sel_hi:[0,1,1]
	global_load_dwordx4 v[108:111], v[112:113], off offset:128
	s_waitcnt vmcnt(0)
	v_lshlrev_b32_e32 v112, 16, v108
	v_and_b32_e32 v108, 0xffff0000, v108
	v_cvt_f16_f32_e32 v108, v108
	v_cvt_f16_f32_e32 v112, v112
	scratch_store_dwordx4 off, v[24:27], off
	scratch_store_dwordx4 off, v[20:23], off offset:32
	v_pack_b32_f16 v108, v112, v108
	v_lshlrev_b32_e32 v112, 16, v109
	v_and_b32_e32 v109, 0xffff0000, v109
	v_cvt_f16_f32_e32 v109, v109
	v_cvt_f16_f32_e32 v112, v112
	v_pk_fma_f16 v16, v114, v108, v16 op_sel_hi:[0,1,1]
	v_pk_fma_f16 v28, v115, v108, v28 op_sel_hi:[0,1,1]
	v_pack_b32_f16 v109, v112, v109
	v_lshlrev_b32_e32 v112, 16, v110
	v_and_b32_e32 v110, 0xffff0000, v110
	v_cvt_f16_f32_e32 v110, v110
	v_cvt_f16_f32_e32 v112, v112
	v_pk_fma_f16 v17, v114, v109, v17 op_sel_hi:[0,1,1]
	v_pk_fma_f16 v29, v115, v109, v29 op_sel_hi:[0,1,1]
	;; [unrolled: 7-line block ×3, first 2 shown]
	v_pack_b32_f16 v111, v112, v111
	v_pk_fma_f16 v19, v114, v111, v19 op_sel_hi:[0,1,1]
	v_pk_fma_f16 v31, v115, v111, v31 op_sel_hi:[0,1,1]
	scratch_store_dwordx4 off, v[16:19], off offset:16
	scratch_store_dwordx4 off, v[28:31], off offset:48
	v_lshl_add_u64 v[112:113], v[88:89], 0, s[24:25]
	ds_read_u16 v114, v105 offset:40
	ds_read_u16 v115, v106 offset:40
	global_load_dwordx4 v[108:111], v[112:113], off offset:-128
	v_lshl_add_u64 v[88:89], v[88:89], 0, s[36:37]
	s_waitcnt vmcnt(0)
	v_lshlrev_b32_e32 v116, 16, v108
	v_and_b32_e32 v108, 0xffff0000, v108
	v_cvt_f16_f32_e32 v108, v108
	v_cvt_f16_f32_e32 v116, v116
	v_pack_b32_f16 v108, v116, v108
	v_lshlrev_b32_e32 v116, 16, v109
	v_and_b32_e32 v109, 0xffff0000, v109
	v_cvt_f16_f32_e32 v109, v109
	v_cvt_f16_f32_e32 v116, v116
	s_waitcnt lgkmcnt(1)
	v_pk_fma_f16 v24, v114, v108, v24 op_sel_hi:[0,1,1]
	s_waitcnt lgkmcnt(0)
	v_pk_fma_f16 v20, v115, v108, v20 op_sel_hi:[0,1,1]
	v_pack_b32_f16 v109, v116, v109
	v_lshlrev_b32_e32 v116, 16, v110
	v_and_b32_e32 v110, 0xffff0000, v110
	v_cvt_f16_f32_e32 v110, v110
	v_cvt_f16_f32_e32 v116, v116
	v_pk_fma_f16 v25, v114, v109, v25 op_sel_hi:[0,1,1]
	v_pk_fma_f16 v21, v115, v109, v21 op_sel_hi:[0,1,1]
	v_pack_b32_f16 v110, v116, v110
	v_lshlrev_b32_e32 v116, 16, v111
	v_and_b32_e32 v111, 0xffff0000, v111
	v_cvt_f16_f32_e32 v111, v111
	v_cvt_f16_f32_e32 v116, v116
	v_pk_fma_f16 v26, v114, v110, v26 op_sel_hi:[0,1,1]
	v_pk_fma_f16 v22, v115, v110, v22 op_sel_hi:[0,1,1]
	v_pack_b32_f16 v111, v116, v111
	v_pk_fma_f16 v27, v114, v111, v27 op_sel_hi:[0,1,1]
	v_pk_fma_f16 v23, v115, v111, v23 op_sel_hi:[0,1,1]
	global_load_dwordx4 v[108:111], v[112:113], off
	s_waitcnt vmcnt(0)
	v_lshlrev_b32_e32 v112, 16, v108
	v_and_b32_e32 v108, 0xffff0000, v108
	v_cvt_f16_f32_e32 v108, v108
	v_cvt_f16_f32_e32 v112, v112
	scratch_store_dwordx4 off, v[24:27], off
	scratch_store_dwordx4 off, v[20:23], off offset:32
	v_pack_b32_f16 v108, v112, v108
	v_lshlrev_b32_e32 v112, 16, v109
	v_and_b32_e32 v109, 0xffff0000, v109
	v_cvt_f16_f32_e32 v109, v109
	v_cvt_f16_f32_e32 v112, v112
	v_pk_fma_f16 v16, v114, v108, v16 op_sel_hi:[0,1,1]
	v_pk_fma_f16 v108, v115, v108, v28 op_sel_hi:[0,1,1]
	v_pack_b32_f16 v109, v112, v109
	v_lshlrev_b32_e32 v112, 16, v110
	v_and_b32_e32 v110, 0xffff0000, v110
	v_cvt_f16_f32_e32 v110, v110
	v_cvt_f16_f32_e32 v112, v112
	v_pk_fma_f16 v17, v114, v109, v17 op_sel_hi:[0,1,1]
	v_pk_fma_f16 v109, v115, v109, v29 op_sel_hi:[0,1,1]
	;; [unrolled: 7-line block ×3, first 2 shown]
	v_pack_b32_f16 v111, v112, v111
	v_pk_fma_f16 v19, v114, v111, v19 op_sel_hi:[0,1,1]
	v_pk_fma_f16 v111, v115, v111, v31 op_sel_hi:[0,1,1]
	scratch_store_dwordx4 off, v[16:19], off offset:16
	scratch_store_dwordx4 off, v[108:111], off offset:48
	v_lshl_add_u64 v[112:113], v[84:85], 0, s[24:25]
	ds_read_u16 v114, v105 offset:48
	ds_read_u16 v115, v106 offset:48
	global_load_dwordx4 v[28:31], v[112:113], off
	v_lshl_add_u64 v[84:85], v[84:85], 0, s[36:37]
	s_waitcnt vmcnt(0)
	v_lshlrev_b32_e32 v116, 16, v28
	v_and_b32_e32 v28, 0xffff0000, v28
	v_cvt_f16_f32_e32 v28, v28
	v_cvt_f16_f32_e32 v116, v116
	v_pack_b32_f16 v116, v116, v28
	v_lshlrev_b32_e32 v28, 16, v29
	v_and_b32_e32 v29, 0xffff0000, v29
	v_cvt_f16_f32_e32 v29, v29
	v_cvt_f16_f32_e32 v28, v28
	v_pack_b32_f16 v117, v28, v29
	;; [unrolled: 5-line block ×3, first 2 shown]
	v_lshlrev_b32_e32 v28, 16, v31
	v_and_b32_e32 v29, 0xffff0000, v31
	v_cvt_f16_f32_e32 v29, v29
	v_cvt_f16_f32_e32 v28, v28
	s_waitcnt lgkmcnt(1)
	v_pk_fma_f16 v30, v114, v118, v26 op_sel_hi:[0,1,1]
	s_waitcnt lgkmcnt(0)
	v_pk_fma_f16 v26, v115, v118, v22 op_sel_hi:[0,1,1]
	v_pack_b32_f16 v119, v28, v29
	v_pk_fma_f16 v28, v114, v116, v24 op_sel_hi:[0,1,1]
	v_pk_fma_f16 v24, v115, v116, v20 op_sel_hi:[0,1,1]
	;; [unrolled: 1-line block ×6, first 2 shown]
	global_load_dwordx4 v[20:23], v[112:113], off offset:128
	s_waitcnt vmcnt(0)
	v_lshlrev_b32_e32 v112, 16, v20
	v_and_b32_e32 v20, 0xffff0000, v20
	v_cvt_f16_f32_e32 v20, v20
	v_cvt_f16_f32_e32 v112, v112
	scratch_store_dwordx4 off, v[28:31], off
	scratch_store_dwordx4 off, v[24:27], off offset:32
	v_pack_b32_f16 v112, v112, v20
	v_lshlrev_b32_e32 v20, 16, v21
	v_and_b32_e32 v21, 0xffff0000, v21
	v_cvt_f16_f32_e32 v21, v21
	v_cvt_f16_f32_e32 v20, v20
	v_pack_b32_f16 v113, v20, v21
	v_lshlrev_b32_e32 v20, 16, v22
	v_and_b32_e32 v21, 0xffff0000, v22
	v_cvt_f16_f32_e32 v21, v21
	v_cvt_f16_f32_e32 v20, v20
	v_pack_b32_f16 v116, v20, v21
	v_lshlrev_b32_e32 v20, 16, v23
	v_and_b32_e32 v21, 0xffff0000, v23
	v_cvt_f16_f32_e32 v21, v21
	v_cvt_f16_f32_e32 v20, v20
	v_pk_fma_f16 v22, v114, v116, v18 op_sel_hi:[0,1,1]
	v_pk_fma_f16 v18, v115, v116, v110 op_sel_hi:[0,1,1]
	v_pack_b32_f16 v117, v20, v21
	v_pk_fma_f16 v20, v114, v112, v16 op_sel_hi:[0,1,1]
	v_pk_fma_f16 v16, v115, v112, v108 op_sel_hi:[0,1,1]
	;; [unrolled: 1-line block ×6, first 2 shown]
	scratch_store_dwordx4 off, v[20:23], off offset:16
	scratch_store_dwordx4 off, v[16:19], off offset:48
	v_lshl_add_u64 v[114:115], v[78:79], 0, s[24:25]
	ds_read_u16 v108, v105 offset:56
	ds_read_u16 v109, v106 offset:56
	global_load_dwordx4 v[110:113], v[114:115], off
	v_lshl_add_u64 v[78:79], v[78:79], 0, s[36:37]
	s_waitcnt vmcnt(0)
	v_lshlrev_b32_e32 v116, 16, v110
	v_and_b32_e32 v110, 0xffff0000, v110
	v_cvt_f16_f32_e32 v110, v110
	v_cvt_f16_f32_e32 v116, v116
	v_pack_b32_f16 v110, v116, v110
	v_lshlrev_b32_e32 v116, 16, v111
	v_and_b32_e32 v111, 0xffff0000, v111
	v_cvt_f16_f32_e32 v111, v111
	v_cvt_f16_f32_e32 v116, v116
	s_waitcnt lgkmcnt(0)
	v_pk_fma_f16 v24, v109, v110, v24 op_sel_hi:[0,1,1]
	v_pk_fma_f16 v28, v108, v110, v28 op_sel_hi:[0,1,1]
	v_pack_b32_f16 v111, v116, v111
	v_lshlrev_b32_e32 v116, 16, v112
	v_and_b32_e32 v112, 0xffff0000, v112
	v_cvt_f16_f32_e32 v112, v112
	v_cvt_f16_f32_e32 v116, v116
	v_pk_fma_f16 v25, v109, v111, v25 op_sel_hi:[0,1,1]
	v_pk_fma_f16 v29, v108, v111, v29 op_sel_hi:[0,1,1]
	v_pack_b32_f16 v112, v116, v112
	v_lshlrev_b32_e32 v116, 16, v113
	v_and_b32_e32 v113, 0xffff0000, v113
	v_cvt_f16_f32_e32 v113, v113
	v_cvt_f16_f32_e32 v116, v116
	v_pk_fma_f16 v26, v109, v112, v26 op_sel_hi:[0,1,1]
	v_pk_fma_f16 v30, v108, v112, v30 op_sel_hi:[0,1,1]
	v_pack_b32_f16 v113, v116, v113
	v_pk_fma_f16 v27, v109, v113, v27 op_sel_hi:[0,1,1]
	scratch_store_dwordx4 off, v[24:27], off offset:32
	global_load_dwordx4 v[24:27], v[114:115], off offset:128
	v_pk_fma_f16 v31, v108, v113, v31 op_sel_hi:[0,1,1]
	scratch_store_dwordx4 off, v[28:31], off
	s_waitcnt vmcnt(1)
	s_nop 0
	v_lshlrev_b32_e32 v28, 16, v24
	v_and_b32_e32 v24, 0xffff0000, v24
	v_cvt_f16_f32_e32 v24, v24
	v_cvt_f16_f32_e32 v28, v28
	v_pack_b32_f16 v24, v28, v24
	v_lshlrev_b32_e32 v28, 16, v25
	v_and_b32_e32 v25, 0xffff0000, v25
	v_cvt_f16_f32_e32 v25, v25
	v_cvt_f16_f32_e32 v28, v28
	v_pk_fma_f16 v20, v108, v24, v20 op_sel_hi:[0,1,1]
	v_pk_fma_f16 v16, v109, v24, v16 op_sel_hi:[0,1,1]
	v_pack_b32_f16 v25, v28, v25
	v_lshlrev_b32_e32 v28, 16, v26
	v_and_b32_e32 v26, 0xffff0000, v26
	v_cvt_f16_f32_e32 v26, v26
	v_cvt_f16_f32_e32 v28, v28
	v_pk_fma_f16 v21, v108, v25, v21 op_sel_hi:[0,1,1]
	v_pk_fma_f16 v17, v109, v25, v17 op_sel_hi:[0,1,1]
	;; [unrolled: 7-line block ×3, first 2 shown]
	v_pack_b32_f16 v27, v28, v27
	v_pk_fma_f16 v23, v108, v27, v23 op_sel_hi:[0,1,1]
	v_pk_fma_f16 v19, v109, v27, v19 op_sel_hi:[0,1,1]
	scratch_store_dwordx4 off, v[20:23], off offset:16
	scratch_store_dwordx4 off, v[16:19], off offset:48
	s_cbranch_scc1 .LBB19_34
.LBB19_18:                              ; =>This Inner Loop Header: Depth=1
	s_nop 0
	v_lshl_add_u64 v[16:17], v[72:73], 0, s[28:29]
	global_load_dword v19, v[16:17], off offset:2
	global_load_dword v20, v[16:17], off offset:20
	;; [unrolled: 1-line block ×4, first 2 shown]
	v_lshl_add_u64 v[16:17], v[74:75], 0, s[28:29]
	global_load_ushort v21, v[16:17], off offset:-54
	global_load_ushort v22, v[16:17], off offset:-36
	;; [unrolled: 1-line block ×3, first 2 shown]
	global_load_ushort v18, v[16:17], off
	v_mov_b32_e32 v16, 0
	v_mov_b32_e32 v17, 0
	;; [unrolled: 1-line block ×8, first 2 shown]
	s_and_b64 vcc, exec, s[46:47]
	s_waitcnt vmcnt(7)
	v_and_b32_e32 v29, 0xf0f0f0f, v19
	v_lshrrev_b32_e32 v19, 4, v19
	v_and_b32_e32 v30, 0xf0f0f0f, v19
	v_dot4c_i32_i8_e32 v16, v29, v36
	s_waitcnt vmcnt(6)
	v_and_b32_e32 v27, 0xf0f0f0f, v20
	v_lshrrev_b32_e32 v20, 4, v20
	v_dot4c_i32_i8_e32 v17, v30, v37
	v_cvt_f32_i32_e32 v16, v16
	v_and_b32_e32 v28, 0xf0f0f0f, v20
	v_dot4c_i32_i8_e32 v31, v27, v38
	v_cvt_f32_i32_e32 v17, v17
	s_waitcnt vmcnt(5)
	v_and_b32_e32 v25, 0xf0f0f0f, v24
	v_lshrrev_b32_e32 v113, 4, v24
	v_cvt_f32_i32_e32 v20, v31
	v_dot4c_i32_i8_e32 v108, v28, v39
	s_waitcnt vmcnt(4)
	v_and_b32_e32 v24, 0xf0f0f0f, v26
	v_lshrrev_b32_e32 v114, 4, v26
	v_and_b32_e32 v26, 0xf0f0f0f, v113
	v_dot4c_i32_i8_e32 v109, v25, v40
	v_cvt_f32_i32_e32 v108, v108
	v_dot4c_i32_i8_e32 v110, v26, v41
	v_fma_f32 v16, v0, v16, -v1
	v_cvt_f32_i32_e32 v31, v109
	v_and_b32_e32 v19, 0xf0f0f0f, v114
	v_dot4c_i32_i8_e32 v111, v24, v42
	v_cvt_f32_i32_e32 v110, v110
	s_waitcnt vmcnt(3)
	v_fma_mix_f32 v16, v16, v21, 0 op_sel_hi:[0,1,0]
	v_fma_f32 v17, v0, v17, -v1
	v_cvt_f32_i32_e32 v109, v111
	v_dot4c_i32_i8_e32 v112, v19, v43
	v_fma_f32 v20, v2, v20, -v3
	v_fma_mix_f32 v16, v17, v21, v16 op_sel_hi:[0,1,0]
	v_fma_f32 v108, v2, v108, -v3
	v_cvt_f32_i32_e32 v111, v112
	s_waitcnt vmcnt(2)
	v_fma_mix_f32 v16, v20, v22, v16 op_sel_hi:[0,1,0]
	v_fma_f32 v31, v4, v31, -v5
	v_fma_mix_f32 v16, v108, v22, v16 op_sel_hi:[0,1,0]
	v_fma_f32 v110, v4, v110, -v5
	s_waitcnt vmcnt(1)
	v_fma_mix_f32 v16, v31, v23, v16 op_sel_hi:[0,1,0]
	v_fma_f32 v109, v6, v109, -v7
	v_fma_mix_f32 v16, v110, v23, v16 op_sel_hi:[0,1,0]
	v_fma_f32 v111, v6, v111, -v7
	s_waitcnt vmcnt(0)
	v_fma_mix_f32 v16, v109, v18, v16 op_sel_hi:[0,1,0]
	v_fma_mix_f32 v16, v111, v18, v16 op_sel_hi:[0,1,0]
	ds_bpermute_b32 v17, v100, v16
	s_waitcnt lgkmcnt(0)
	v_add_f32_e32 v20, v16, v17
	ds_bpermute_b32 v31, v101, v20
	v_lshl_add_u64 v[16:17], v[56:57], 0, s[26:27]
	s_waitcnt lgkmcnt(0)
	v_add_f32_e32 v20, v20, v31
	s_cbranch_vccz .LBB19_20
; %bb.19:                               ;   in Loop: Header=BB19_18 Depth=1
	global_load_ushort v31, v[16:17], off
	s_waitcnt vmcnt(0)
	v_fma_mix_f32 v20, v97, v31, v20 op_sel_hi:[0,1,0]
.LBB19_20:                              ;   in Loop: Header=BB19_18 Depth=1
	v_mov_b32_e32 v31, 0
	v_dot4c_i32_i8_e32 v31, v29, v44
	v_cvt_f32_f16_e32 v21, v21
	v_cvt_f32_f16_e32 v22, v22
	;; [unrolled: 1-line block ×3, first 2 shown]
	v_cvt_f32_i32_e32 v29, v31
	v_mov_b32_e32 v31, 0
	v_dot4c_i32_i8_e32 v31, v30, v45
	v_cvt_f32_f16_e32 v18, v18
	v_fma_f32 v29, v8, v29, -v9
	v_fma_f32 v29, v29, v21, 0
	v_cvt_f32_i32_e32 v30, v31
	v_mov_b32_e32 v31, 0
	v_dot4c_i32_i8_e32 v31, v27, v46
	s_andn2_b64 vcc, exec, s[52:53]
	v_fma_f32 v30, v8, v30, -v9
	v_fmac_f32_e32 v29, v30, v21
	v_cvt_f32_i32_e32 v27, v31
	v_mov_b32_e32 v31, 0
	v_dot4c_i32_i8_e32 v31, v28, v47
	v_fma_f32 v21, v10, v27, -v11
	v_mov_b32_e32 v27, 0
	s_nop 0
	v_cvt_f32_i32_e32 v28, v31
	v_dot4c_i32_i8_e32 v27, v25, v48
	v_fmac_f32_e32 v29, v21, v22
	v_fma_f32 v21, v10, v28, -v11
	s_nop 0
	v_cvt_f32_i32_e32 v25, v27
	v_mov_b32_e32 v27, 0
	v_dot4c_i32_i8_e32 v27, v26, v49
	v_fmac_f32_e32 v29, v21, v22
	v_mov_b32_e32 v22, 0
	v_dot4c_i32_i8_e32 v22, v24, v50
	v_cvt_f32_i32_e32 v26, v27
	v_mov_b32_e32 v24, 0
	v_dot4c_i32_i8_e32 v24, v19, v51
	v_cvt_f32_i32_e32 v22, v22
	v_fma_f32 v21, v12, v25, -v13
	v_fmac_f32_e32 v29, v21, v23
	v_cvt_f32_i32_e32 v19, v24
	v_fma_f32 v21, v12, v26, -v13
	v_fmac_f32_e32 v29, v21, v23
	v_fma_f32 v21, v14, v22, -v15
	v_fmac_f32_e32 v29, v21, v18
	;; [unrolled: 2-line block ×3, first 2 shown]
	ds_bpermute_b32 v18, v100, v29
	v_cndmask_b32_e64 v21, 0, 1, s[52:53]
	v_cmp_ne_u32_e64 s[12:13], 1, v21
	s_waitcnt lgkmcnt(0)
	v_add_f32_e32 v18, v29, v18
	ds_bpermute_b32 v19, v101, v18
	s_waitcnt lgkmcnt(0)
	v_add_f32_e32 v21, v18, v19
	s_cbranch_vccnz .LBB19_22
; %bb.21:                               ;   in Loop: Header=BB19_18 Depth=1
	v_lshl_add_u64 v[18:19], v[54:55], 0, s[26:27]
	global_load_ushort v18, v[18:19], off
	s_waitcnt vmcnt(0)
	v_fma_mix_f32 v21, v97, v18, v21 op_sel_hi:[0,1,0]
.LBB19_22:                              ;   in Loop: Header=BB19_18 Depth=1
	v_lshl_add_u64 v[18:19], v[66:67], 0, s[28:29]
	global_load_dword v22, v[18:19], off offset:2
	global_load_dword v28, v[18:19], off offset:20
	;; [unrolled: 1-line block ×4, first 2 shown]
	v_lshl_add_u64 v[26:27], v[70:71], 0, s[28:29]
	global_load_ushort v23, v[26:27], off
	global_load_ushort v24, v[26:27], off offset:18
	global_load_ushort v25, v[26:27], off offset:36
	;; [unrolled: 1-line block ×3, first 2 shown]
	v_mov_b32_e32 v109, 0
	v_mov_b32_e32 v110, 0
	;; [unrolled: 1-line block ×8, first 2 shown]
	s_andn2_b64 vcc, exec, s[46:47]
	s_waitcnt vmcnt(7)
	v_and_b32_e32 v31, 0xf0f0f0f, v22
	v_lshrrev_b32_e32 v19, 4, v22
	s_waitcnt vmcnt(6)
	v_lshrrev_b32_e32 v22, 4, v28
	s_waitcnt vmcnt(4)
	v_and_b32_e32 v26, 0xf0f0f0f, v108
	v_lshrrev_b32_e32 v117, 4, v108
	v_and_b32_e32 v108, 0xf0f0f0f, v19
	v_dot4c_i32_i8_e32 v109, v31, v36
	v_and_b32_e32 v29, 0xf0f0f0f, v28
	v_and_b32_e32 v27, 0xf0f0f0f, v30
	v_lshrrev_b32_e32 v28, 4, v30
	v_and_b32_e32 v30, 0xf0f0f0f, v22
	v_cvt_f32_i32_e32 v22, v109
	v_dot4c_i32_i8_e32 v110, v108, v37
	v_dot4c_i32_i8_e32 v111, v29, v38
	;; [unrolled: 1-line block ×3, first 2 shown]
	v_and_b32_e32 v28, 0xf0f0f0f, v28
	v_cvt_f32_i32_e32 v110, v110
	v_cvt_f32_i32_e32 v109, v111
	v_dot4c_i32_i8_e32 v113, v27, v40
	v_cvt_f32_i32_e32 v112, v112
	v_dot4c_i32_i8_e32 v114, v28, v41
	v_fma_f32 v22, v0, v22, -v1
	v_cvt_f32_i32_e32 v111, v113
	v_and_b32_e32 v19, 0xf0f0f0f, v117
	v_dot4c_i32_i8_e32 v115, v26, v42
	v_cvt_f32_i32_e32 v114, v114
	s_waitcnt vmcnt(3)
	v_fma_mix_f32 v22, v22, v23, 0 op_sel_hi:[0,1,0]
	v_fma_f32 v110, v0, v110, -v1
	v_cvt_f32_i32_e32 v113, v115
	v_dot4c_i32_i8_e32 v116, v19, v43
	v_fma_f32 v109, v2, v109, -v3
	v_fma_mix_f32 v22, v110, v23, v22 op_sel_hi:[0,1,0]
	v_fma_f32 v112, v2, v112, -v3
	v_cvt_f32_i32_e32 v115, v116
	s_waitcnt vmcnt(2)
	v_fma_mix_f32 v22, v109, v24, v22 op_sel_hi:[0,1,0]
	v_fma_f32 v111, v4, v111, -v5
	v_fma_mix_f32 v22, v112, v24, v22 op_sel_hi:[0,1,0]
	v_fma_f32 v114, v4, v114, -v5
	s_waitcnt vmcnt(1)
	v_fma_mix_f32 v22, v111, v25, v22 op_sel_hi:[0,1,0]
	v_fma_f32 v113, v6, v113, -v7
	v_fma_mix_f32 v22, v114, v25, v22 op_sel_hi:[0,1,0]
	s_waitcnt vmcnt(0)
	v_fma_mix_f32 v22, v113, v18, v22 op_sel_hi:[0,1,0]
	v_fma_f32 v109, v6, v115, -v7
	v_fma_mix_f32 v22, v109, v18, v22 op_sel_hi:[0,1,0]
	ds_bpermute_b32 v109, v100, v22
	v_cndmask_b32_e64 v110, 0, 1, s[46:47]
	v_cmp_ne_u32_e64 s[14:15], 1, v110
	s_waitcnt lgkmcnt(0)
	v_add_f32_e32 v22, v22, v109
	ds_bpermute_b32 v109, v101, v22
	s_waitcnt lgkmcnt(0)
	v_add_f32_e32 v22, v22, v109
	s_cbranch_vccnz .LBB19_24
; %bb.23:                               ;   in Loop: Header=BB19_18 Depth=1
	global_load_ushort v109, v[16:17], off offset:2
	s_waitcnt vmcnt(0)
	v_fma_mix_f32 v22, v97, v109, v22 op_sel_hi:[0,1,0]
.LBB19_24:                              ;   in Loop: Header=BB19_18 Depth=1
	v_mov_b32_e32 v109, 0
	v_dot4c_i32_i8_e32 v109, v31, v44
	v_cvt_f32_f16_e32 v23, v23
	v_cvt_f32_f16_e32 v24, v24
	;; [unrolled: 1-line block ×3, first 2 shown]
	v_cvt_f32_i32_e32 v31, v109
	v_mov_b32_e32 v109, 0
	v_dot4c_i32_i8_e32 v109, v108, v45
	v_cvt_f32_f16_e32 v18, v18
	v_fma_f32 v31, v8, v31, -v9
	v_fma_f32 v31, v31, v23, 0
	v_cvt_f32_i32_e32 v108, v109
	v_mov_b32_e32 v109, 0
	v_dot4c_i32_i8_e32 v109, v29, v46
	s_and_b64 vcc, exec, s[12:13]
	v_fma_f32 v108, v8, v108, -v9
	v_fmac_f32_e32 v31, v108, v23
	v_cvt_f32_i32_e32 v29, v109
	v_mov_b32_e32 v109, 0
	v_dot4c_i32_i8_e32 v109, v30, v47
	v_fma_f32 v23, v10, v29, -v11
	v_mov_b32_e32 v29, 0
	s_nop 0
	v_cvt_f32_i32_e32 v30, v109
	v_dot4c_i32_i8_e32 v29, v27, v48
	v_fmac_f32_e32 v31, v23, v24
	v_fma_f32 v23, v10, v30, -v11
	s_nop 0
	v_cvt_f32_i32_e32 v27, v29
	v_mov_b32_e32 v29, 0
	v_dot4c_i32_i8_e32 v29, v28, v49
	v_fmac_f32_e32 v31, v23, v24
	v_mov_b32_e32 v24, 0
	v_dot4c_i32_i8_e32 v24, v26, v50
	v_cvt_f32_i32_e32 v28, v29
	v_mov_b32_e32 v26, 0
	v_dot4c_i32_i8_e32 v26, v19, v51
	v_cvt_f32_i32_e32 v24, v24
	v_fma_f32 v23, v12, v27, -v13
	v_fmac_f32_e32 v31, v23, v25
	v_cvt_f32_i32_e32 v19, v26
	v_fma_f32 v23, v12, v28, -v13
	v_fmac_f32_e32 v31, v23, v25
	v_fma_f32 v23, v14, v24, -v15
	v_fmac_f32_e32 v31, v23, v18
	;; [unrolled: 2-line block ×3, first 2 shown]
	ds_bpermute_b32 v18, v100, v31
	s_waitcnt lgkmcnt(0)
	v_add_f32_e32 v18, v31, v18
	ds_bpermute_b32 v19, v101, v18
	s_waitcnt lgkmcnt(0)
	v_add_f32_e32 v23, v18, v19
	v_lshl_add_u64 v[18:19], v[62:63], 0, s[26:27]
	s_cbranch_vccnz .LBB19_26
; %bb.25:                               ;   in Loop: Header=BB19_18 Depth=1
	global_load_ushort v24, v[18:19], off offset:2
	s_waitcnt vmcnt(0)
	v_fma_mix_f32 v23, v97, v24, v23 op_sel_hi:[0,1,0]
.LBB19_26:                              ;   in Loop: Header=BB19_18 Depth=1
	v_lshl_add_u64 v[24:25], v[60:61], 0, s[28:29]
	global_load_dword v26, v[24:25], off offset:2
	global_load_dword v27, v[24:25], off offset:20
	;; [unrolled: 1-line block ×4, first 2 shown]
	v_lshl_add_u64 v[24:25], v[64:65], 0, s[28:29]
	global_load_ushort v28, v[24:25], off
	global_load_ushort v29, v[24:25], off offset:18
	global_load_ushort v30, v[24:25], off offset:36
	s_nop 0
	global_load_ushort v25, v[24:25], off offset:54
	v_mov_b32_e32 v24, 0
	v_mov_b32_e32 v113, 0
	;; [unrolled: 1-line block ×8, first 2 shown]
	s_and_b64 vcc, exec, s[14:15]
	s_waitcnt vmcnt(7)
	v_and_b32_e32 v111, 0xf0f0f0f, v26
	v_lshrrev_b32_e32 v26, 4, v26
	v_and_b32_e32 v112, 0xf0f0f0f, v26
	v_dot4c_i32_i8_e32 v24, v111, v36
	s_waitcnt vmcnt(6)
	v_and_b32_e32 v109, 0xf0f0f0f, v27
	v_lshrrev_b32_e32 v120, 4, v27
	v_dot4c_i32_i8_e32 v113, v112, v37
	v_cvt_f32_i32_e32 v24, v24
	s_waitcnt vmcnt(4)
	v_and_b32_e32 v27, 0xf0f0f0f, v110
	v_lshrrev_b32_e32 v121, 4, v110
	v_and_b32_e32 v110, 0xf0f0f0f, v120
	v_dot4c_i32_i8_e32 v114, v109, v38
	v_cvt_f32_i32_e32 v113, v113
	v_and_b32_e32 v31, 0xf0f0f0f, v108
	v_lshrrev_b32_e32 v108, 4, v108
	v_cvt_f32_i32_e32 v114, v114
	v_dot4c_i32_i8_e32 v115, v110, v39
	v_and_b32_e32 v108, 0xf0f0f0f, v108
	v_dot4c_i32_i8_e32 v116, v31, v40
	v_dot4c_i32_i8_e32 v117, v108, v41
	v_cvt_f32_i32_e32 v115, v115
	v_fma_f32 v24, v0, v24, -v1
	v_cvt_f32_i32_e32 v116, v116
	v_and_b32_e32 v26, 0xf0f0f0f, v121
	v_dot4c_i32_i8_e32 v118, v27, v42
	v_cvt_f32_i32_e32 v117, v117
	s_waitcnt vmcnt(3)
	v_fma_mix_f32 v24, v24, v28, 0 op_sel_hi:[0,1,0]
	v_fma_f32 v113, v0, v113, -v1
	v_cvt_f32_i32_e32 v118, v118
	v_dot4c_i32_i8_e32 v119, v26, v43
	v_fma_f32 v114, v2, v114, -v3
	v_fma_mix_f32 v24, v113, v28, v24 op_sel_hi:[0,1,0]
	v_fma_f32 v115, v2, v115, -v3
	v_cvt_f32_i32_e32 v119, v119
	s_waitcnt vmcnt(2)
	v_fma_mix_f32 v24, v114, v29, v24 op_sel_hi:[0,1,0]
	v_fma_f32 v116, v4, v116, -v5
	v_fma_mix_f32 v24, v115, v29, v24 op_sel_hi:[0,1,0]
	v_fma_f32 v117, v4, v117, -v5
	s_waitcnt vmcnt(1)
	v_fma_mix_f32 v24, v116, v30, v24 op_sel_hi:[0,1,0]
	v_fma_f32 v118, v6, v118, -v7
	v_fma_mix_f32 v24, v117, v30, v24 op_sel_hi:[0,1,0]
	s_waitcnt vmcnt(0)
	v_fma_mix_f32 v24, v118, v25, v24 op_sel_hi:[0,1,0]
	v_fma_f32 v113, v6, v119, -v7
	v_fma_mix_f32 v24, v113, v25, v24 op_sel_hi:[0,1,0]
	ds_bpermute_b32 v113, v100, v24
	s_waitcnt lgkmcnt(0)
	v_add_f32_e32 v24, v24, v113
	ds_bpermute_b32 v113, v101, v24
	s_waitcnt lgkmcnt(0)
	v_add_f32_e32 v24, v24, v113
	s_cbranch_vccnz .LBB19_28
; %bb.27:                               ;   in Loop: Header=BB19_18 Depth=1
	global_load_ushort v113, v[16:17], off offset:4
	s_waitcnt vmcnt(0)
	v_fma_mix_f32 v24, v97, v113, v24 op_sel_hi:[0,1,0]
.LBB19_28:                              ;   in Loop: Header=BB19_18 Depth=1
	v_mov_b32_e32 v113, 0
	v_dot4c_i32_i8_e32 v113, v111, v44
	v_cvt_f32_f16_e32 v28, v28
	v_cvt_f32_f16_e32 v29, v29
	v_cvt_f32_f16_e32 v30, v30
	v_cvt_f32_i32_e32 v111, v113
	v_mov_b32_e32 v113, 0
	v_dot4c_i32_i8_e32 v113, v112, v45
	v_cvt_f32_f16_e32 v25, v25
	v_fma_f32 v111, v8, v111, -v9
	v_fma_f32 v111, v111, v28, 0
	v_cvt_f32_i32_e32 v112, v113
	v_mov_b32_e32 v113, 0
	v_dot4c_i32_i8_e32 v113, v109, v46
	s_and_b64 vcc, exec, s[12:13]
	v_fma_f32 v112, v8, v112, -v9
	v_fmac_f32_e32 v111, v112, v28
	v_cvt_f32_i32_e32 v109, v113
	v_mov_b32_e32 v113, 0
	v_dot4c_i32_i8_e32 v113, v110, v47
	v_fma_f32 v28, v10, v109, -v11
	v_mov_b32_e32 v109, 0
	s_nop 0
	v_cvt_f32_i32_e32 v110, v113
	v_fmac_f32_e32 v111, v28, v29
	v_dot4c_i32_i8_e32 v109, v31, v48
	v_fma_f32 v28, v10, v110, -v11
	v_fmac_f32_e32 v111, v28, v29
	s_nop 0
	v_cvt_f32_i32_e32 v31, v109
	v_mov_b32_e32 v109, 0
	v_mov_b32_e32 v29, 0
	v_dot4c_i32_i8_e32 v109, v108, v49
	v_dot4c_i32_i8_e32 v29, v27, v50
	v_fma_f32 v28, v12, v31, -v13
	v_fmac_f32_e32 v111, v28, v30
	v_cvt_f32_i32_e32 v108, v109
	v_cvt_f32_i32_e32 v27, v29
	v_mov_b32_e32 v29, 0
	v_dot4c_i32_i8_e32 v29, v26, v51
	v_fma_f32 v28, v12, v108, -v13
	v_fmac_f32_e32 v111, v28, v30
	v_fma_f32 v27, v14, v27, -v15
	v_cvt_f32_i32_e32 v26, v29
	v_fmac_f32_e32 v111, v27, v25
	v_fma_f32 v26, v14, v26, -v15
	v_fmac_f32_e32 v111, v26, v25
	ds_bpermute_b32 v25, v100, v111
	s_waitcnt lgkmcnt(0)
	v_add_f32_e32 v25, v111, v25
	ds_bpermute_b32 v26, v101, v25
	s_waitcnt lgkmcnt(0)
	v_add_f32_e32 v25, v25, v26
	s_cbranch_vccnz .LBB19_30
; %bb.29:                               ;   in Loop: Header=BB19_18 Depth=1
	global_load_ushort v26, v[18:19], off offset:4
	s_waitcnt vmcnt(0)
	v_fma_mix_f32 v25, v97, v26, v25 op_sel_hi:[0,1,0]
.LBB19_30:                              ;   in Loop: Header=BB19_18 Depth=1
	v_lshl_add_u64 v[26:27], v[52:53], 0, s[28:29]
	global_load_dword v28, v[26:27], off offset:2
	global_load_dword v29, v[26:27], off offset:20
	;; [unrolled: 1-line block ×4, first 2 shown]
	v_lshl_add_u64 v[26:27], v[58:59], 0, s[28:29]
	global_load_ushort v30, v[26:27], off
	global_load_ushort v31, v[26:27], off offset:18
	global_load_ushort v108, v[26:27], off offset:36
	s_nop 0
	global_load_ushort v27, v[26:27], off offset:54
	v_mov_b32_e32 v26, 0
	v_mov_b32_e32 v115, 0
	;; [unrolled: 1-line block ×8, first 2 shown]
	s_and_b64 vcc, exec, s[14:15]
	s_waitcnt vmcnt(7)
	v_and_b32_e32 v113, 0xf0f0f0f, v28
	v_lshrrev_b32_e32 v28, 4, v28
	v_and_b32_e32 v114, 0xf0f0f0f, v28
	v_dot4c_i32_i8_e32 v26, v113, v36
	s_waitcnt vmcnt(6)
	v_and_b32_e32 v111, 0xf0f0f0f, v29
	v_lshrrev_b32_e32 v122, 4, v29
	v_dot4c_i32_i8_e32 v115, v114, v37
	v_cvt_f32_i32_e32 v26, v26
	s_waitcnt vmcnt(4)
	v_and_b32_e32 v29, 0xf0f0f0f, v112
	v_lshrrev_b32_e32 v123, 4, v112
	v_and_b32_e32 v112, 0xf0f0f0f, v122
	v_dot4c_i32_i8_e32 v116, v111, v38
	v_cvt_f32_i32_e32 v115, v115
	v_and_b32_e32 v109, 0xf0f0f0f, v110
	v_lshrrev_b32_e32 v110, 4, v110
	v_cvt_f32_i32_e32 v116, v116
	v_dot4c_i32_i8_e32 v117, v112, v39
	v_and_b32_e32 v110, 0xf0f0f0f, v110
	v_dot4c_i32_i8_e32 v118, v109, v40
	v_dot4c_i32_i8_e32 v119, v110, v41
	v_cvt_f32_i32_e32 v117, v117
	v_fma_f32 v26, v0, v26, -v1
	v_cvt_f32_i32_e32 v118, v118
	v_and_b32_e32 v28, 0xf0f0f0f, v123
	v_dot4c_i32_i8_e32 v120, v29, v42
	v_cvt_f32_i32_e32 v119, v119
	s_waitcnt vmcnt(3)
	v_fma_mix_f32 v26, v26, v30, 0 op_sel_hi:[0,1,0]
	v_fma_f32 v115, v0, v115, -v1
	v_cvt_f32_i32_e32 v120, v120
	v_dot4c_i32_i8_e32 v121, v28, v43
	v_fma_f32 v116, v2, v116, -v3
	v_fma_mix_f32 v26, v115, v30, v26 op_sel_hi:[0,1,0]
	v_fma_f32 v117, v2, v117, -v3
	v_cvt_f32_i32_e32 v121, v121
	s_waitcnt vmcnt(2)
	v_fma_mix_f32 v26, v116, v31, v26 op_sel_hi:[0,1,0]
	v_fma_f32 v118, v4, v118, -v5
	v_fma_mix_f32 v26, v117, v31, v26 op_sel_hi:[0,1,0]
	v_fma_f32 v119, v4, v119, -v5
	s_waitcnt vmcnt(1)
	v_fma_mix_f32 v26, v118, v108, v26 op_sel_hi:[0,1,0]
	v_fma_f32 v120, v6, v120, -v7
	v_fma_mix_f32 v26, v119, v108, v26 op_sel_hi:[0,1,0]
	s_waitcnt vmcnt(0)
	v_fma_mix_f32 v26, v120, v27, v26 op_sel_hi:[0,1,0]
	v_fma_f32 v115, v6, v121, -v7
	v_fma_mix_f32 v26, v115, v27, v26 op_sel_hi:[0,1,0]
	ds_bpermute_b32 v115, v100, v26
	s_waitcnt lgkmcnt(0)
	v_add_f32_e32 v26, v26, v115
	ds_bpermute_b32 v115, v101, v26
	s_waitcnt lgkmcnt(0)
	v_add_f32_e32 v26, v26, v115
	s_cbranch_vccnz .LBB19_32
; %bb.31:                               ;   in Loop: Header=BB19_18 Depth=1
	global_load_ushort v16, v[16:17], off offset:6
	s_waitcnt vmcnt(0)
	v_fma_mix_f32 v26, v97, v16, v26 op_sel_hi:[0,1,0]
.LBB19_32:                              ;   in Loop: Header=BB19_18 Depth=1
	v_cvt_f32_f16_e32 v17, v31
	v_mov_b32_e32 v31, 0
	v_cvt_f32_f16_e32 v16, v30
	v_cvt_f32_f16_e32 v30, v108
	v_dot4c_i32_i8_e32 v31, v113, v44
	v_mov_b32_e32 v108, 0
	v_mov_b32_e32 v113, 0
	v_dot4c_i32_i8_e32 v108, v114, v45
	v_cvt_f32_i32_e32 v31, v31
	v_dot4c_i32_i8_e32 v113, v111, v46
	v_cvt_f32_f16_e32 v27, v27
	v_cvt_f32_i32_e32 v108, v108
	v_fma_f32 v31, v8, v31, -v9
	v_cvt_f32_i32_e32 v111, v113
	v_mov_b32_e32 v113, 0
	v_dot4c_i32_i8_e32 v113, v112, v47
	v_fma_f32 v31, v31, v16, 0
	v_fma_f32 v108, v8, v108, -v9
	v_fmac_f32_e32 v31, v108, v16
	v_cvt_f32_i32_e32 v112, v113
	v_fma_f32 v16, v10, v111, -v11
	v_mov_b32_e32 v108, 0
	v_fmac_f32_e32 v31, v16, v17
	v_fma_f32 v16, v10, v112, -v11
	v_dot4c_i32_i8_e32 v108, v109, v48
	v_mov_b32_e32 v109, 0
	v_dot4c_i32_i8_e32 v109, v110, v49
	v_fmac_f32_e32 v31, v16, v17
	v_cvt_f32_i32_e32 v108, v108
	v_mov_b32_e32 v17, 0
	v_cvt_f32_i32_e32 v109, v109
	v_dot4c_i32_i8_e32 v17, v29, v50
	v_mov_b32_e32 v29, 0
	v_dot4c_i32_i8_e32 v29, v28, v51
	v_fma_f32 v16, v12, v108, -v13
	v_cvt_f32_i32_e32 v17, v17
	v_fmac_f32_e32 v31, v16, v30
	v_cvt_f32_i32_e32 v28, v29
	v_fma_f32 v16, v12, v109, -v13
	v_fmac_f32_e32 v31, v16, v30
	v_fma_f32 v16, v14, v17, -v15
	v_fmac_f32_e32 v31, v16, v27
	;; [unrolled: 2-line block ×3, first 2 shown]
	ds_bpermute_b32 v16, v100, v31
	s_and_b64 vcc, exec, s[12:13]
	s_waitcnt lgkmcnt(0)
	v_add_f32_e32 v16, v31, v16
	ds_bpermute_b32 v17, v101, v16
	s_waitcnt lgkmcnt(0)
	v_add_f32_e32 v16, v16, v17
	s_cbranch_vccnz .LBB19_17
; %bb.33:                               ;   in Loop: Header=BB19_18 Depth=1
	global_load_ushort v17, v[18:19], off offset:6
	s_waitcnt vmcnt(0)
	v_fma_mix_f32 v16, v97, v17, v16 op_sel_hi:[0,1,0]
	s_branch .LBB19_17
.LBB19_34:
	s_cmp_eq_u64 s[44:45], 0
	s_cselect_b64 s[4:5], -1, 0
	s_cmp_lg_u32 s3, 0
	s_cselect_b64 s[6:7], -1, 0
	s_or_b64 s[4:5], s[6:7], s[4:5]
	s_or_b64 s[4:5], s[16:17], s[4:5]
	s_xor_b64 s[4:5], s[4:5], -1
	s_and_saveexec_b64 s[8:9], s[4:5]
	s_cbranch_execz .LBB19_36
; %bb.35:
	scratch_load_dwordx4 v[0:3], v99, off
	scratch_load_dwordx4 v[4:7], v99, off offset:16
	s_ashr_i32 s21, s20, 31
	s_lshl_b64 s[4:5], s[20:21], 2
	s_add_u32 s4, s44, s4
	s_addc_u32 s5, s45, s5
	s_load_dword s4, s[4:5], 0x0
	v_cmp_eq_u32_e32 vcc, 1, v93
	s_mov_b32 s2, 0x3fb8aa3b
	s_mov_b32 s10, 0xc2ce8ed0
	v_cndmask_b32_e32 v8, v34, v35, vcc
	v_max_f32_e32 v10, v8, v8
	s_waitcnt lgkmcnt(0)
	v_max_f32_e64 v12, s4, s4
	v_max_f32_e32 v10, v12, v10
	v_sub_f32_e32 v8, v8, v10
	v_sub_f32_e32 v12, s4, v10
	v_mul_f32_e32 v13, 0x3fb8aa3b, v8
	v_mul_f32_e32 v14, 0x3fb8aa3b, v12
	v_fma_f32 v15, v8, s2, -v13
	v_rndne_f32_e32 v16, v13
	v_fma_f32 v17, v12, s2, -v14
	v_rndne_f32_e32 v18, v14
	v_fmac_f32_e32 v15, 0x32a5705f, v8
	v_sub_f32_e32 v13, v13, v16
	v_fmac_f32_e32 v17, 0x32a5705f, v12
	v_sub_f32_e32 v14, v14, v18
	v_add_f32_e32 v13, v13, v15
	v_cvt_i32_f32_e32 v16, v16
	v_add_f32_e32 v14, v14, v17
	v_exp_f32_e32 v13, v13
	v_cvt_i32_f32_e32 v18, v18
	v_exp_f32_e32 v14, v14
	v_cmp_eq_u32_e64 s[4:5], 0, v93
	v_cndmask_b32_e32 v35, v35, v10, vcc
	v_cmp_ngt_f32_e64 s[6:7], s10, v8
	v_cndmask_b32_e64 v34, v34, v10, s[4:5]
	v_ldexp_f32 v10, v13, v16
	s_mov_b32 s11, 0x42b17218
	v_ldexp_f32 v13, v14, v18
	v_cndmask_b32_e64 v10, 0, v10, s[6:7]
	v_cmp_ngt_f32_e64 s[6:7], s10, v12
	v_mov_b32_e32 v9, 0x7f800000
	v_cndmask_b32_e32 v11, v32, v33, vcc
	v_cndmask_b32_e64 v13, 0, v13, s[6:7]
	v_cmp_nlt_f32_e64 s[6:7], s11, v8
	s_nop 1
	v_cndmask_b32_e64 v8, v9, v10, s[6:7]
	v_cmp_nlt_f32_e64 s[6:7], s11, v12
	v_cvt_f16_f32_e32 v10, v8
	s_waitcnt vmcnt(1)
	v_pk_mul_f16 v0, v10, v0 op_sel_hi:[0,1]
	v_cndmask_b32_e64 v9, v9, v13, s[6:7]
	v_cmp_eq_u32_e64 s[6:7], 0, v92
	v_pk_mul_f16 v1, v10, v1 op_sel_hi:[0,1]
	v_pk_mul_f16 v2, v10, v2 op_sel_hi:[0,1]
	v_cndmask_b32_e64 v9, 0, v9, s[6:7]
	v_fmac_f32_e32 v9, v11, v8
	v_cndmask_b32_e32 v33, v33, v9, vcc
	v_pk_mul_f16 v3, v10, v3 op_sel_hi:[0,1]
	v_cndmask_b32_e64 v32, v32, v9, s[4:5]
	s_waitcnt vmcnt(0)
	v_pk_mul_f16 v4, v10, v4 op_sel_hi:[0,1]
	v_pk_mul_f16 v5, v10, v5 op_sel_hi:[0,1]
	;; [unrolled: 1-line block ×4, first 2 shown]
	scratch_store_dwordx4 v99, v[0:3], off
	scratch_store_dwordx4 v99, v[4:7], off offset:16
.LBB19_36:
	s_or_b64 exec, exec, s[8:9]
	v_cmp_eq_u32_e32 vcc, 0, v93
	s_and_saveexec_b64 s[4:5], vcc
	s_cbranch_execz .LBB19_38
; %bb.37:
	v_mov_b32_e32 v0, 0xfeffffff
	v_add_u32_e32 v2, 0x1000, v96
	v_mov_b32_e32 v1, 0
	ds_write2_b32 v2, v0, v0 offset1:32
	ds_write2_b32 v2, v1, v1 offset0:64 offset1:96
.LBB19_38:
	s_or_b64 exec, exec, s[4:5]
	v_cmp_eq_u32_e64 s[4:5], 0, v92
	s_waitcnt lgkmcnt(0)
	s_barrier
	s_and_saveexec_b64 s[6:7], s[4:5]
	s_cbranch_execz .LBB19_40
; %bb.39:
	v_lshlrev_b32_e32 v0, 2, v93
	v_add_u32_e32 v0, 0x1000, v0
	ds_write2_b32 v0, v34, v35 offset1:32
.LBB19_40:
	s_or_b64 exec, exec, s[6:7]
	s_cmp_lt_i32 s33, s18
	s_waitcnt lgkmcnt(0)
	s_barrier
	s_cbranch_scc1 .LBB19_42
; %bb.41:
	s_add_u32 s6, s0, 0xd0
	s_addc_u32 s7, s1, 0
	s_mul_i32 s2, s64, s18
	s_cbranch_execz .LBB19_43
	s_branch .LBB19_51
.LBB19_42:
                                        ; implicit-def: $sgpr6_sgpr7
	s_mul_i32 s2, s64, s18
.LBB19_43:
	v_mbcnt_hi_u32_b32 v0, -1, v98
	v_and_b32_e32 v1, 0x60, v0
	ds_read_b32 v3, v96 offset:4096
	scratch_load_dwordx4 v[10:13], off, off
	scratch_load_dwordx4 v[14:17], off, off offset:16
	v_add_u32_e32 v1, 32, v1
	v_xor_b32_e32 v2, 16, v0
	v_cmp_lt_i32_e32 vcc, v2, v1
	v_xor_b32_e32 v4, 8, v0
	v_xor_b32_e32 v5, 4, v0
	v_cndmask_b32_e32 v2, v0, v2, vcc
	v_lshlrev_b32_e32 v8, 2, v2
	s_waitcnt lgkmcnt(0)
	ds_bpermute_b32 v2, v8, v3
	v_cmp_lt_i32_e32 vcc, v4, v1
	v_max_f32_e32 v3, v3, v3
	v_xor_b32_e32 v6, 2, v0
	v_cndmask_b32_e32 v4, v0, v4, vcc
	s_waitcnt lgkmcnt(0)
	v_max_f32_e32 v2, v2, v2
	v_lshlrev_b32_e32 v4, 2, v4
	v_max_f32_e32 v2, v3, v2
	ds_bpermute_b32 v3, v4, v2
	v_cmp_lt_i32_e32 vcc, v5, v1
	v_xor_b32_e32 v7, 1, v0
	s_mov_b32 s6, 0x3fb8aa3b
	v_cndmask_b32_e32 v5, v0, v5, vcc
	s_waitcnt lgkmcnt(0)
	v_max_f32_e32 v3, v3, v3
	v_lshlrev_b32_e32 v5, 2, v5
	v_max_f32_e32 v2, v2, v3
	ds_bpermute_b32 v3, v5, v2
	v_cmp_lt_i32_e32 vcc, v6, v1
	s_mov_b32 s7, 0x42b17218
	s_load_dword s10, s[0:1], 0xd4
	v_cndmask_b32_e32 v6, v0, v6, vcc
	s_waitcnt lgkmcnt(0)
	v_max_f32_e32 v3, v3, v3
	v_lshlrev_b32_e32 v6, 2, v6
	v_max_f32_e32 v2, v2, v3
	ds_bpermute_b32 v3, v6, v2
	v_cmp_lt_i32_e32 vcc, v7, v1
	v_lshlrev_b32_e32 v18, 4, v92
	s_nop 0
	v_cndmask_b32_e32 v0, v0, v7, vcc
	v_lshlrev_b32_e32 v7, 2, v0
	s_waitcnt lgkmcnt(0)
	v_max_f32_e32 v0, v3, v3
	v_max_f32_e32 v0, v2, v0
	ds_bpermute_b32 v1, v7, v0
	s_waitcnt lgkmcnt(0)
	v_max_f32_e32 v1, v1, v1
	v_max_f32_e32 v0, v0, v1
	v_sub_f32_e32 v1, v34, v0
	v_mul_f32_e32 v2, 0x3fb8aa3b, v1
	v_fma_f32 v3, v1, s6, -v2
	v_rndne_f32_e32 v9, v2
	v_fmamk_f32 v3, v1, 0x32a5705f, v3
	v_sub_f32_e32 v2, v2, v9
	v_add_f32_e32 v2, v2, v3
	v_cvt_i32_f32_e32 v9, v9
	v_exp_f32_e32 v2, v2
	s_mov_b32 s6, 0xc2ce8ed0
	v_cmp_ngt_f32_e32 vcc, s6, v1
	v_mov_b32_e32 v3, 0x7f800000
	v_ldexp_f32 v2, v2, v9
	v_cndmask_b32_e32 v2, 0, v2, vcc
	v_cmp_nlt_f32_e32 vcc, s7, v1
	s_add_u32 s6, s0, 0xd0
	s_movk_i32 s0, 0x70
	v_cndmask_b32_e32 v1, v3, v2, vcc
	v_mul_f32_e32 v2, v32, v1
	ds_bpermute_b32 v2, v8, v2
	v_lshlrev_b32_e32 v3, 5, v92
	v_and_b32_e32 v3, 0xf00, v3
	v_cvt_f16_f32_e32 v20, v1
	s_addc_u32 s7, s1, 0
	s_waitcnt lgkmcnt(0)
	v_fmac_f32_e32 v2, v32, v1
	ds_bpermute_b32 v9, v4, v2
	v_lshl_add_u32 v1, v93, 10, v3
	s_waitcnt lgkmcnt(0)
	v_add_f32_e32 v2, v2, v9
	ds_bpermute_b32 v19, v5, v2
	v_and_or_b32 v9, v18, s0, v1
	s_waitcnt vmcnt(1)
	v_pk_mul_f16 v10, v20, v10 op_sel_hi:[0,1]
	v_pk_mul_f16 v11, v20, v11 op_sel_hi:[0,1]
	;; [unrolled: 1-line block ×3, first 2 shown]
	s_waitcnt lgkmcnt(0)
	v_add_f32_e32 v1, v2, v19
	ds_bpermute_b32 v2, v6, v1
	v_pk_mul_f16 v13, v20, v13 op_sel_hi:[0,1]
	s_waitcnt vmcnt(0)
	v_pk_mul_f16 v14, v20, v14 op_sel_hi:[0,1]
	v_pk_mul_f16 v15, v20, v15 op_sel_hi:[0,1]
	;; [unrolled: 1-line block ×3, first 2 shown]
	s_waitcnt lgkmcnt(0)
	v_add_f32_e32 v1, v1, v2
	ds_bpermute_b32 v2, v7, v1
	v_pk_mul_f16 v17, v20, v17 op_sel_hi:[0,1]
	scratch_store_dwordx4 off, v[10:13], off
	scratch_store_dwordx4 off, v[14:17], off offset:16
	ds_write_b128 v9, v[10:13]
	ds_write_b128 v9, v[14:17] offset:128
	s_and_saveexec_b64 s[0:1], s[4:5]
	s_cbranch_execz .LBB19_45
; %bb.44:
	s_waitcnt lgkmcnt(2)
	v_add_f32_e32 v1, v1, v2
	v_lshlrev_b32_e32 v2, 2, v93
	ds_write_b32 v2, v1 offset:4352
.LBB19_45:
	s_or_b64 exec, exec, s[0:1]
	s_waitcnt lgkmcnt(0)
	s_barrier
	ds_read_b32 v3, v96 offset:4352
	ds_read_u16 v1, v95
	ds_read_u16 v2, v95 offset:256
	ds_read_u16 v10, v95 offset:512
	;; [unrolled: 1-line block ×6, first 2 shown]
	s_waitcnt lgkmcnt(6)
	v_cvt_f32_f16_e32 v1, v1
	s_waitcnt lgkmcnt(5)
	v_cvt_f32_f16_e32 v2, v2
	;; [unrolled: 2-line block ×4, first 2 shown]
	v_add_f32_e32 v1, 0, v1
	v_add_f32_e32 v1, v1, v2
	s_waitcnt lgkmcnt(2)
	v_cvt_f32_f16_e32 v2, v13
	v_add_f32_e32 v1, v1, v10
	s_waitcnt lgkmcnt(1)
	v_cvt_f32_f16_e32 v10, v14
	;; [unrolled: 3-line block ×3, first 2 shown]
	ds_read_u16 v13, v95 offset:1792
	ds_read_u16 v14, v95 offset:2048
	;; [unrolled: 1-line block ×8, first 2 shown]
	s_waitcnt lgkmcnt(7)
	v_cvt_f32_f16_e32 v13, v13
	v_add_f32_e32 v1, v1, v2
	v_add_f32_e32 v1, v1, v10
	s_waitcnt lgkmcnt(6)
	v_cvt_f32_f16_e32 v2, v14
	v_add_f32_e32 v1, v1, v12
	s_waitcnt lgkmcnt(5)
	v_cvt_f32_f16_e32 v12, v15
	ds_bpermute_b32 v11, v8, v3
	v_add_f32_e32 v1, v1, v13
	s_waitcnt lgkmcnt(5)
	v_cvt_f32_f16_e32 v13, v16
	s_waitcnt lgkmcnt(4)
	v_cvt_f32_f16_e32 v10, v17
	v_add_f32_e32 v1, v1, v2
	v_add_f32_e32 v1, v1, v12
	;; [unrolled: 1-line block ×3, first 2 shown]
	s_waitcnt lgkmcnt(0)
	v_pk_add_f32 v[2:3], v[2:3], v[10:11]
	ds_bpermute_b32 v11, v4, v3
	v_cvt_f32_f16_e32 v10, v18
	ds_read_u16 v1, v95 offset:3840
	s_cmp_eq_u32 s10, 1
	s_waitcnt lgkmcnt(1)
	v_pk_add_f32 v[2:3], v[2:3], v[10:11]
	ds_bpermute_b32 v11, v5, v3
	v_cvt_f32_f16_e32 v10, v19
	s_waitcnt lgkmcnt(0)
	v_pk_add_f32 v[2:3], v[2:3], v[10:11]
	ds_bpermute_b32 v11, v6, v3
	v_cvt_f32_f16_e32 v10, v20
	;; [unrolled: 4-line block ×3, first 2 shown]
	s_waitcnt lgkmcnt(0)
	v_pk_add_f32 v[2:3], v[2:3], v[10:11]
	s_nop 0
	v_div_scale_f32 v1, s[0:1], v3, v3, v2
	v_rcp_f32_e32 v10, v1
	s_cselect_b64 s[0:1], -1, 0
	s_add_i32 s8, s2, s33
	s_mul_i32 s11, s8, s19
	v_fma_f32 v11, -v1, v10, 1.0
	v_fmac_f32_e32 v10, v11, v10
	v_div_scale_f32 v11, vcc, v2, v3, v2
	v_mul_f32_e32 v12, v11, v10
	v_fma_f32 v13, -v1, v12, v11
	v_fmac_f32_e32 v12, v13, v10
	v_fma_f32 v1, -v1, v12, v11
	s_add_i32 s11, s11, s20
	v_div_fmas_f32 v1, v1, v10, v12
	s_mul_i32 s8, s10, s11
	v_div_fixup_f32 v10, v1, v3, v2
	s_add_i32 s8, s8, s3
	v_cndmask_b32_e64 v2, v2, v10, s[0:1]
	v_lshl_or_b32 v10, s8, 7, v94
	v_mov_b32_e32 v11, 0
	s_or_b32 s8, s33, 1
	v_lshl_add_u64 v[10:11], v[10:11], 2, s[48:49]
	s_cmp_ge_i32 s8, s18
	global_store_dword v[10:11], v2, off
	s_barrier
	s_cbranch_scc1 .LBB19_49
; %bb.46:
	v_or_b32_e32 v1, 0x1000, v96
	ds_read_b32 v1, v1 offset:128
	scratch_load_dwordx4 v[12:15], off, off offset:32
	scratch_load_dwordx4 v[16:19], off, off offset:48
	s_mov_b32 s8, 0x3fb8aa3b
	s_mov_b32 s9, 0x42b17218
	s_waitcnt lgkmcnt(0)
	ds_bpermute_b32 v2, v8, v1
	v_max_f32_e32 v1, v1, v1
	v_or_b32_e32 v21, 0x80, v9
	s_waitcnt lgkmcnt(0)
	v_max_f32_e32 v2, v2, v2
	v_max_f32_e32 v1, v1, v2
	ds_bpermute_b32 v2, v4, v1
	s_waitcnt lgkmcnt(0)
	v_max_f32_e32 v2, v2, v2
	v_max_f32_e32 v1, v1, v2
	ds_bpermute_b32 v2, v5, v1
	;; [unrolled: 4-line block ×4, first 2 shown]
	s_waitcnt lgkmcnt(0)
	v_max_f32_e32 v2, v2, v2
	v_max_f32_e32 v1, v1, v2
	v_sub_f32_e32 v2, v35, v1
	v_mul_f32_e32 v10, 0x3fb8aa3b, v2
	v_fma_f32 v11, v2, s8, -v10
	v_rndne_f32_e32 v20, v10
	v_fmamk_f32 v11, v2, 0x32a5705f, v11
	v_sub_f32_e32 v10, v10, v20
	v_add_f32_e32 v10, v10, v11
	v_cvt_i32_f32_e32 v20, v20
	v_exp_f32_e32 v10, v10
	s_mov_b32 s8, 0xc2ce8ed0
	v_cmp_ngt_f32_e32 vcc, s8, v2
	v_mov_b32_e32 v11, 0x7f800000
	v_ldexp_f32 v10, v10, v20
	v_cndmask_b32_e32 v10, 0, v10, vcc
	v_cmp_nlt_f32_e32 vcc, s9, v2
	s_nop 1
	v_cndmask_b32_e32 v2, v11, v10, vcc
	v_mul_f32_e32 v10, v33, v2
	ds_bpermute_b32 v10, v8, v10
	v_cvt_f16_f32_e32 v22, v2
	s_waitcnt lgkmcnt(0)
	v_fmac_f32_e32 v10, v33, v2
	ds_bpermute_b32 v11, v4, v10
	v_mov_b32_e32 v2, v3
	s_waitcnt lgkmcnt(0)
	v_add_f32_e32 v10, v10, v11
	ds_bpermute_b32 v11, v5, v10
	s_waitcnt lgkmcnt(0)
	v_add_f32_e32 v11, v10, v11
	ds_bpermute_b32 v20, v6, v11
	v_add_u32_e32 v10, 0x1100, v96
	s_waitcnt vmcnt(1)
	v_pk_mul_f16 v12, v22, v12 op_sel_hi:[0,1]
	s_waitcnt lgkmcnt(0)
	v_add_f32_e32 v3, v11, v20
	ds_bpermute_b32 v11, v7, v3
	v_pk_mul_f16 v13, v22, v13 op_sel_hi:[0,1]
	v_pk_mul_f16 v14, v22, v14 op_sel_hi:[0,1]
	;; [unrolled: 1-line block ×3, first 2 shown]
	s_waitcnt vmcnt(0)
	v_pk_mul_f16 v16, v22, v16 op_sel_hi:[0,1]
	v_pk_mul_f16 v17, v22, v17 op_sel_hi:[0,1]
	;; [unrolled: 1-line block ×4, first 2 shown]
	scratch_store_dwordx4 off, v[12:15], off offset:32
	scratch_store_dwordx4 off, v[16:19], off offset:48
	ds_write_b128 v9, v[12:15]
	ds_write_b128 v21, v[16:19]
	s_and_saveexec_b64 s[8:9], s[4:5]
	s_cbranch_execz .LBB19_48
; %bb.47:
	v_lshlrev_b32_e32 v9, 2, v93
	s_waitcnt lgkmcnt(2)
	v_add_f32_e32 v3, v3, v11
	ds_write_b32 v9, v3 offset:4480
.LBB19_48:
	s_or_b64 exec, exec, s[8:9]
	s_waitcnt lgkmcnt(0)
	s_barrier
	ds_read_b32 v9, v10 offset:128
	ds_read_u16 v3, v95
	ds_read_u16 v10, v95 offset:256
	ds_read_u16 v12, v95 offset:512
	;; [unrolled: 1-line block ×6, first 2 shown]
	s_waitcnt lgkmcnt(6)
	v_cvt_f32_f16_e32 v3, v3
	ds_bpermute_b32 v11, v8, v9
	s_waitcnt lgkmcnt(6)
	v_cvt_f32_f16_e32 v8, v10
	s_waitcnt lgkmcnt(5)
	v_cvt_f32_f16_e32 v10, v12
	;; [unrolled: 2-line block ×3, first 2 shown]
	v_add_f32_e32 v3, 0, v3
	v_add_f32_e32 v3, v3, v8
	s_waitcnt lgkmcnt(3)
	v_cvt_f32_f16_e32 v8, v14
	v_add_f32_e32 v3, v3, v10
	s_waitcnt lgkmcnt(2)
	v_cvt_f32_f16_e32 v10, v15
	;; [unrolled: 3-line block ×3, first 2 shown]
	ds_read_u16 v13, v95 offset:1792
	ds_read_u16 v14, v95 offset:2048
	;; [unrolled: 1-line block ×8, first 2 shown]
	s_waitcnt lgkmcnt(7)
	v_cvt_f32_f16_e32 v13, v13
	v_add_f32_e32 v3, v3, v8
	v_add_f32_e32 v3, v3, v10
	s_waitcnt lgkmcnt(6)
	v_cvt_f32_f16_e32 v8, v14
	v_add_f32_e32 v3, v3, v12
	s_waitcnt lgkmcnt(5)
	v_cvt_f32_f16_e32 v12, v15
	;; [unrolled: 3-line block ×3, first 2 shown]
	s_waitcnt lgkmcnt(3)
	v_cvt_f32_f16_e32 v10, v17
	v_add_f32_e32 v3, v3, v8
	v_add_f32_e32 v3, v3, v12
	;; [unrolled: 1-line block ×3, first 2 shown]
	v_pk_add_f32 v[8:9], v[8:9], v[10:11]
	ds_bpermute_b32 v11, v4, v9
	s_waitcnt lgkmcnt(3)
	v_cvt_f32_f16_e32 v10, v18
	s_waitcnt lgkmcnt(2)
	v_cvt_f32_f16_e32 v4, v19
	ds_read_u16 v3, v95 offset:3840
	s_add_i32 s11, s11, s19
	s_waitcnt lgkmcnt(1)
	v_pk_add_f32 v[8:9], v[8:9], v[10:11]
	ds_bpermute_b32 v5, v5, v9
	s_mul_i32 s4, s10, s11
	s_add_i32 s8, s4, s3
	s_waitcnt lgkmcnt(0)
	v_pk_add_f32 v[4:5], v[8:9], v[4:5]
	ds_bpermute_b32 v9, v6, v5
	v_cvt_f32_f16_e32 v8, v20
	v_cvt_f32_f16_e32 v6, v3
	s_waitcnt lgkmcnt(0)
	v_pk_add_f32 v[4:5], v[4:5], v[8:9]
	ds_bpermute_b32 v7, v7, v5
	s_waitcnt lgkmcnt(0)
	v_pk_add_f32 v[32:33], v[4:5], v[6:7]
	s_nop 0
	v_div_scale_f32 v3, s[4:5], v33, v33, v32
	v_rcp_f32_e32 v6, v3
	v_lshl_or_b32 v4, s8, 7, v94
	v_mov_b32_e32 v5, 0
	v_lshl_add_u64 v[4:5], v[4:5], 2, s[48:49]
	v_fma_f32 v7, -v3, v6, 1.0
	v_fmac_f32_e32 v6, v7, v6
	v_div_scale_f32 v7, vcc, v32, v33, v32
	v_mul_f32_e32 v8, v7, v6
	v_fma_f32 v9, -v3, v8, v7
	v_fmac_f32_e32 v8, v9, v6
	v_fma_f32 v3, -v3, v8, v7
	v_div_fmas_f32 v3, v3, v6, v8
	v_div_fixup_f32 v3, v3, v33, v32
	v_cndmask_b32_e64 v3, v32, v3, s[0:1]
	global_store_dword v[4:5], v3, off
	v_mov_b32_e32 v3, v2
	s_branch .LBB19_50
.LBB19_49:
	v_mov_b32_e32 v1, v35
.LBB19_50:
	v_mov_b32_e32 v32, v3
	v_mov_b64_e32 v[34:35], v[0:1]
.LBB19_51:
	s_load_dword s0, s[6:7], 0x4
	v_cmp_gt_u32_e32 vcc, 2, v94
	v_or_b32_e32 v0, s33, v92
	s_waitcnt lgkmcnt(0)
	s_cmp_lg_u32 s0, 1
	s_cselect_b64 s[4:5], -1, 0
	s_and_b64 s[4:5], vcc, s[4:5]
	v_cmp_gt_i32_e32 vcc, s18, v0
	s_and_b64 s[4:5], s[4:5], vcc
	s_and_saveexec_b64 s[6:7], s[4:5]
	s_cbranch_execz .LBB19_53
; %bb.52:
	v_add_u32_e32 v0, s2, v0
	v_mul_lo_u32 v0, v0, s19
	v_add_u32_e32 v0, s20, v0
	v_mul_lo_u32 v0, s0, v0
	v_mov_b32_e32 v2, s50
	v_mov_b32_e32 v3, s51
	v_cmp_eq_u32_e32 vcc, 1, v94
	v_add_u32_e32 v0, s3, v0
	v_mov_b32_e32 v1, 0
	v_cndmask_b32_e32 v4, v34, v35, vcc
	v_cndmask_b32_e32 v5, v32, v33, vcc
	v_lshl_add_u64 v[0:1], v[0:1], 3, v[2:3]
	global_store_dwordx2 v[0:1], v[4:5], off
.LBB19_53:
	s_endpgm
	.section	.rodata,"a",@progbits
	.p2align	6, 0x0
	.amdhsa_kernel _ZL18flash_attn_ext_vecILi128ELi2EL9ggml_type2ELS0_30ELb0EEvPKcS2_S2_S2_S2_PKiPfP15HIP_vector_typeIfLj2EEffffjfiS6_IjLj3EEiiiiiiiiiiiliiliiiiil
		.amdhsa_group_segment_fixed_size 4608
		.amdhsa_private_segment_fixed_size 80
		.amdhsa_kernarg_size 464
		.amdhsa_user_sgpr_count 2
		.amdhsa_user_sgpr_dispatch_ptr 0
		.amdhsa_user_sgpr_queue_ptr 0
		.amdhsa_user_sgpr_kernarg_segment_ptr 1
		.amdhsa_user_sgpr_dispatch_id 0
		.amdhsa_user_sgpr_kernarg_preload_length 0
		.amdhsa_user_sgpr_kernarg_preload_offset 0
		.amdhsa_user_sgpr_private_segment_size 0
		.amdhsa_uses_dynamic_stack 0
		.amdhsa_enable_private_segment 1
		.amdhsa_system_sgpr_workgroup_id_x 1
		.amdhsa_system_sgpr_workgroup_id_y 1
		.amdhsa_system_sgpr_workgroup_id_z 1
		.amdhsa_system_sgpr_workgroup_info 0
		.amdhsa_system_vgpr_workitem_id 1
		.amdhsa_next_free_vgpr 124
		.amdhsa_next_free_sgpr 71
		.amdhsa_accum_offset 124
		.amdhsa_reserve_vcc 1
		.amdhsa_float_round_mode_32 0
		.amdhsa_float_round_mode_16_64 0
		.amdhsa_float_denorm_mode_32 3
		.amdhsa_float_denorm_mode_16_64 3
		.amdhsa_dx10_clamp 1
		.amdhsa_ieee_mode 1
		.amdhsa_fp16_overflow 0
		.amdhsa_tg_split 0
		.amdhsa_exception_fp_ieee_invalid_op 0
		.amdhsa_exception_fp_denorm_src 0
		.amdhsa_exception_fp_ieee_div_zero 0
		.amdhsa_exception_fp_ieee_overflow 0
		.amdhsa_exception_fp_ieee_underflow 0
		.amdhsa_exception_fp_ieee_inexact 0
		.amdhsa_exception_int_div_zero 0
	.end_amdhsa_kernel
	.section	.text._ZL18flash_attn_ext_vecILi128ELi2EL9ggml_type2ELS0_30ELb0EEvPKcS2_S2_S2_S2_PKiPfP15HIP_vector_typeIfLj2EEffffjfiS6_IjLj3EEiiiiiiiiiiiliiliiiiil,"axG",@progbits,_ZL18flash_attn_ext_vecILi128ELi2EL9ggml_type2ELS0_30ELb0EEvPKcS2_S2_S2_S2_PKiPfP15HIP_vector_typeIfLj2EEffffjfiS6_IjLj3EEiiiiiiiiiiiliiliiiiil,comdat
.Lfunc_end19:
	.size	_ZL18flash_attn_ext_vecILi128ELi2EL9ggml_type2ELS0_30ELb0EEvPKcS2_S2_S2_S2_PKiPfP15HIP_vector_typeIfLj2EEffffjfiS6_IjLj3EEiiiiiiiiiiiliiliiiiil, .Lfunc_end19-_ZL18flash_attn_ext_vecILi128ELi2EL9ggml_type2ELS0_30ELb0EEvPKcS2_S2_S2_S2_PKiPfP15HIP_vector_typeIfLj2EEffffjfiS6_IjLj3EEiiiiiiiiiiiliiliiiiil
                                        ; -- End function
	.section	.AMDGPU.csdata,"",@progbits
; Kernel info:
; codeLenInByte = 14620
; NumSgprs: 77
; NumVgprs: 124
; NumAgprs: 0
; TotalNumVgprs: 124
; ScratchSize: 80
; MemoryBound: 0
; FloatMode: 240
; IeeeMode: 1
; LDSByteSize: 4608 bytes/workgroup (compile time only)
; SGPRBlocks: 9
; VGPRBlocks: 15
; NumSGPRsForWavesPerEU: 77
; NumVGPRsForWavesPerEU: 124
; AccumOffset: 124
; Occupancy: 4
; WaveLimiterHint : 0
; COMPUTE_PGM_RSRC2:SCRATCH_EN: 1
; COMPUTE_PGM_RSRC2:USER_SGPR: 2
; COMPUTE_PGM_RSRC2:TRAP_HANDLER: 0
; COMPUTE_PGM_RSRC2:TGID_X_EN: 1
; COMPUTE_PGM_RSRC2:TGID_Y_EN: 1
; COMPUTE_PGM_RSRC2:TGID_Z_EN: 1
; COMPUTE_PGM_RSRC2:TIDIG_COMP_CNT: 1
; COMPUTE_PGM_RSRC3_GFX90A:ACCUM_OFFSET: 30
; COMPUTE_PGM_RSRC3_GFX90A:TG_SPLIT: 0
	.section	.text._ZL33flash_attn_stream_k_fixup_uniformILi128ELi2ELi1EEvPfPK15HIP_vector_typeIfLj2EEiiiiiiS1_IjLj3EES5_S5_,"axG",@progbits,_ZL33flash_attn_stream_k_fixup_uniformILi128ELi2ELi1EEvPfPK15HIP_vector_typeIfLj2EEiiiiiiS1_IjLj3EES5_S5_,comdat
	.globl	_ZL33flash_attn_stream_k_fixup_uniformILi128ELi2ELi1EEvPfPK15HIP_vector_typeIfLj2EEiiiiiiS1_IjLj3EES5_S5_ ; -- Begin function _ZL33flash_attn_stream_k_fixup_uniformILi128ELi2ELi1EEvPfPK15HIP_vector_typeIfLj2EEiiiiiiS1_IjLj3EES5_S5_
	.p2align	8
	.type	_ZL33flash_attn_stream_k_fixup_uniformILi128ELi2ELi1EEvPfPK15HIP_vector_typeIfLj2EEiiiiiiS1_IjLj3EES5_S5_,@function
_ZL33flash_attn_stream_k_fixup_uniformILi128ELi2ELi1EEvPfPK15HIP_vector_typeIfLj2EEiiiiiiS1_IjLj3EES5_S5_: ; @_ZL33flash_attn_stream_k_fixup_uniformILi128ELi2ELi1EEvPfPK15HIP_vector_typeIfLj2EEiiiiiiS1_IjLj3EES5_S5_
; %bb.0:
	s_load_dwordx8 s[8:15], s[0:1], 0x1c
	s_load_dwordx2 s[6:7], s[0:1], 0x10
	s_load_dwordx4 s[20:23], s[0:1], 0x3c
	s_waitcnt lgkmcnt(0)
	s_mul_hi_u32 s5, s11, s2
	s_add_i32 s5, s2, s5
	s_lshr_b32 s5, s5, s12
	s_mul_i32 s11, s5, s13
	s_sub_i32 s11, s2, s11
	s_mul_hi_u32 s12, s11, s14
	s_add_i32 s12, s11, s12
	s_lshr_b32 s16, s12, s15
	s_mul_i32 s12, s16, s20
	s_sub_i32 s12, s11, s12
	;; [unrolled: 5-line block ×3, first 2 shown]
	s_lshl_b32 s12, s17, 1
	s_add_i32 s12, s12, s3
	s_cmp_lt_i32 s12, s6
	s_cselect_b64 s[12:13], -1, 0
	s_add_i32 s14, s11, s4
	s_cmp_lt_i32 s14, s9
	s_cselect_b64 s[14:15], -1, 0
	s_and_b64 s[12:13], s[12:13], s[14:15]
	s_andn2_b64 vcc, exec, s[12:13]
	s_cbranch_vccnz .LBB20_6
; %bb.1:
	s_load_dwordx4 s[12:15], s[0:1], 0x0
	s_mul_i32 s0, s5, s6
	s_add_i32 s0, s0, s3
	s_mul_i32 s0, s0, s7
	s_mul_i32 s16, s16, s9
	s_add_i32 s0, s0, s4
	s_add_i32 s0, s0, s16
	s_mul_i32 s1, s7, s17
	s_add_i32 s0, s0, s11
	s_lshl_b32 s1, s1, 8
	s_lshl_b32 s0, s0, 7
	s_add_i32 s1, s1, s0
	v_or_b32_e32 v4, s1, v0
	s_waitcnt lgkmcnt(0)
	v_mov_b32_e32 v2, s12
	v_mov_b32_e32 v3, s13
	v_ashrrev_i32_e32 v5, 31, v4
	v_lshl_add_u64 v[2:3], v[4:5], 2, v[2:3]
	global_load_dword v7, v[2:3], off
	s_mul_i32 s6, s2, s10
	s_add_i32 s7, s6, s10
	s_add_i32 s3, s3, s4
	s_lshl_b32 s0, s7, 1
	s_add_i32 s0, s3, s0
	s_add_i32 s0, s0, -2
	s_ashr_i32 s1, s0, 31
	s_lshl_b64 s[0:1], s[0:1], 3
	s_add_u32 s0, s14, s0
	s_addc_u32 s1, s15, s1
	s_load_dword s9, s[0:1], 0x4
	s_add_i32 s4, s7, -2
	s_cmp_lt_i32 s4, s6
	s_cbranch_scc1 .LBB20_4
; %bb.2:
	s_lshl_b32 s4, s8, 3
	s_ashr_i32 s5, s4, 31
	s_lshl_b64 s[4:5], s[4:5], 2
	s_add_u32 s4, s14, s4
	s_addc_u32 s5, s15, s5
	s_add_i32 s2, s2, 1
	s_mul_i32 s2, s10, s2
	s_load_dword s0, s[0:1], 0x0
	s_lshl_b32 s1, s3, 7
	s_lshl_b32 s10, s2, 8
	s_add_i32 s1, s1, s10
	v_or_b32_e32 v0, s1, v0
	s_lshl_b32 s1, s2, 1
	s_add_i32 s1, s3, s1
	s_lshl_b32 s2, s8, 1
	s_add_i32 s1, s1, s2
	s_add_i32 s7, s7, -1
	v_add_u32_e32 v0, 0xfffffe00, v0
	s_add_i32 s2, s1, -4
	s_waitcnt lgkmcnt(0)
	v_mov_b32_e32 v6, s9
	v_mov_b32_e32 v5, s0
	s_mov_b32 s8, 0x3fb8aa3b
	s_mov_b32 s9, 0xc2ce8ed0
	;; [unrolled: 1-line block ×3, first 2 shown]
	v_mov_b32_e32 v4, 0x7f800000
	s_mov_b32 s11, 0xc1a00000
.LBB20_3:                               ; =>This Inner Loop Header: Depth=1
	v_ashrrev_i32_e32 v1, 31, v0
	v_lshl_add_u64 v[8:9], v[0:1], 2, s[4:5]
	global_load_dword v1, v[8:9], off
	s_ashr_i32 s3, s2, 31
	s_lshl_b64 s[0:1], s[2:3], 3
	s_add_u32 s0, s14, s0
	s_addc_u32 s1, s15, s1
	s_load_dwordx2 s[12:13], s[0:1], 0x0
	s_waitcnt vmcnt(1)
	v_mov_b32_e32 v8, v7
	v_max_f32_e32 v7, v5, v5
	v_mov_b32_e32 v9, v6
	s_add_i32 s7, s7, -1
	s_waitcnt lgkmcnt(0)
	v_max_f32_e64 v6, s12, s12
	v_max_f32_e32 v6, v7, v6
	v_sub_f32_e32 v10, s12, v6
	v_sub_f32_e32 v7, v5, v6
	v_mul_f32_e32 v11, 0x3fb8aa3b, v10
	v_mov_b32_e32 v5, v6
	v_mul_f32_e32 v6, 0x3fb8aa3b, v7
	v_fma_f32 v14, v10, s8, -v11
	v_rndne_f32_e32 v15, v11
	v_fma_f32 v12, v7, s8, -v6
	v_rndne_f32_e32 v13, v6
	v_fmac_f32_e32 v14, 0x32a5705f, v10
	v_sub_f32_e32 v11, v11, v15
	v_fmac_f32_e32 v12, 0x32a5705f, v7
	v_sub_f32_e32 v6, v6, v13
	v_add_f32_e32 v11, v11, v14
	v_cvt_i32_f32_e32 v15, v15
	v_add_f32_e32 v6, v6, v12
	v_exp_f32_e32 v11, v11
	v_cvt_i32_f32_e32 v13, v13
	v_exp_f32_e32 v6, v6
	v_cmp_ngt_f32_e32 vcc, s9, v10
	v_ldexp_f32 v11, v11, v15
	v_cmp_ngt_f32_e64 s[0:1], s9, v7
	v_ldexp_f32 v6, v6, v13
	v_cndmask_b32_e32 v11, 0, v11, vcc
	v_cmp_nlt_f32_e32 vcc, s10, v10
	v_cndmask_b32_e64 v6, 0, v6, s[0:1]
	v_cmp_nlt_f32_e64 s[0:1], s10, v7
	v_cndmask_b32_e32 v11, v4, v11, vcc
	v_cmp_le_f32_e32 vcc, s11, v10
	v_cndmask_b32_e64 v6, v4, v6, s[0:1]
	v_cmp_le_f32_e64 s[0:1], s11, v7
	v_cndmask_b32_e32 v7, 0, v11, vcc
	s_add_i32 s2, s2, -2
	v_cndmask_b32_e64 v10, 0, v6, s[0:1]
	v_mul_f32_e32 v6, s13, v7
	v_add_u32_e32 v0, 0xffffff00, v0
	s_cmp_le_i32 s7, s6
	v_fmac_f32_e32 v6, v9, v10
	s_waitcnt vmcnt(0)
	v_mul_f32_e32 v7, v1, v7
	v_fmac_f32_e32 v7, v8, v10
	s_cbranch_scc0 .LBB20_3
	s_branch .LBB20_5
.LBB20_4:
	s_waitcnt lgkmcnt(0)
	v_mov_b32_e32 v6, s9
.LBB20_5:
	s_waitcnt vmcnt(0)
	v_div_scale_f32 v0, s[0:1], v6, v6, v7
	v_rcp_f32_e32 v1, v0
	v_div_scale_f32 v4, vcc, v7, v6, v7
	v_fma_f32 v5, -v0, v1, 1.0
	v_fmac_f32_e32 v1, v5, v1
	v_mul_f32_e32 v5, v4, v1
	v_fma_f32 v8, -v0, v5, v4
	v_fmac_f32_e32 v5, v8, v1
	v_fma_f32 v0, -v0, v5, v4
	v_div_fmas_f32 v0, v0, v1, v5
	v_div_fixup_f32 v0, v0, v6, v7
	global_store_dword v[2:3], v0, off
.LBB20_6:
	s_endpgm
	.section	.rodata,"a",@progbits
	.p2align	6, 0x0
	.amdhsa_kernel _ZL33flash_attn_stream_k_fixup_uniformILi128ELi2ELi1EEvPfPK15HIP_vector_typeIfLj2EEiiiiiiS1_IjLj3EES5_S5_
		.amdhsa_group_segment_fixed_size 0
		.amdhsa_private_segment_fixed_size 0
		.amdhsa_kernarg_size 76
		.amdhsa_user_sgpr_count 2
		.amdhsa_user_sgpr_dispatch_ptr 0
		.amdhsa_user_sgpr_queue_ptr 0
		.amdhsa_user_sgpr_kernarg_segment_ptr 1
		.amdhsa_user_sgpr_dispatch_id 0
		.amdhsa_user_sgpr_kernarg_preload_length 0
		.amdhsa_user_sgpr_kernarg_preload_offset 0
		.amdhsa_user_sgpr_private_segment_size 0
		.amdhsa_uses_dynamic_stack 0
		.amdhsa_enable_private_segment 0
		.amdhsa_system_sgpr_workgroup_id_x 1
		.amdhsa_system_sgpr_workgroup_id_y 1
		.amdhsa_system_sgpr_workgroup_id_z 1
		.amdhsa_system_sgpr_workgroup_info 0
		.amdhsa_system_vgpr_workitem_id 0
		.amdhsa_next_free_vgpr 16
		.amdhsa_next_free_sgpr 24
		.amdhsa_accum_offset 16
		.amdhsa_reserve_vcc 1
		.amdhsa_float_round_mode_32 0
		.amdhsa_float_round_mode_16_64 0
		.amdhsa_float_denorm_mode_32 3
		.amdhsa_float_denorm_mode_16_64 3
		.amdhsa_dx10_clamp 1
		.amdhsa_ieee_mode 1
		.amdhsa_fp16_overflow 0
		.amdhsa_tg_split 0
		.amdhsa_exception_fp_ieee_invalid_op 0
		.amdhsa_exception_fp_denorm_src 0
		.amdhsa_exception_fp_ieee_div_zero 0
		.amdhsa_exception_fp_ieee_overflow 0
		.amdhsa_exception_fp_ieee_underflow 0
		.amdhsa_exception_fp_ieee_inexact 0
		.amdhsa_exception_int_div_zero 0
	.end_amdhsa_kernel
	.section	.text._ZL33flash_attn_stream_k_fixup_uniformILi128ELi2ELi1EEvPfPK15HIP_vector_typeIfLj2EEiiiiiiS1_IjLj3EES5_S5_,"axG",@progbits,_ZL33flash_attn_stream_k_fixup_uniformILi128ELi2ELi1EEvPfPK15HIP_vector_typeIfLj2EEiiiiiiS1_IjLj3EES5_S5_,comdat
.Lfunc_end20:
	.size	_ZL33flash_attn_stream_k_fixup_uniformILi128ELi2ELi1EEvPfPK15HIP_vector_typeIfLj2EEiiiiiiS1_IjLj3EES5_S5_, .Lfunc_end20-_ZL33flash_attn_stream_k_fixup_uniformILi128ELi2ELi1EEvPfPK15HIP_vector_typeIfLj2EEiiiiiiS1_IjLj3EES5_S5_
                                        ; -- End function
	.section	.AMDGPU.csdata,"",@progbits
; Kernel info:
; codeLenInByte = 820
; NumSgprs: 30
; NumVgprs: 16
; NumAgprs: 0
; TotalNumVgprs: 16
; ScratchSize: 0
; MemoryBound: 0
; FloatMode: 240
; IeeeMode: 1
; LDSByteSize: 0 bytes/workgroup (compile time only)
; SGPRBlocks: 3
; VGPRBlocks: 1
; NumSGPRsForWavesPerEU: 30
; NumVGPRsForWavesPerEU: 16
; AccumOffset: 16
; Occupancy: 8
; WaveLimiterHint : 0
; COMPUTE_PGM_RSRC2:SCRATCH_EN: 0
; COMPUTE_PGM_RSRC2:USER_SGPR: 2
; COMPUTE_PGM_RSRC2:TRAP_HANDLER: 0
; COMPUTE_PGM_RSRC2:TGID_X_EN: 1
; COMPUTE_PGM_RSRC2:TGID_Y_EN: 1
; COMPUTE_PGM_RSRC2:TGID_Z_EN: 1
; COMPUTE_PGM_RSRC2:TIDIG_COMP_CNT: 0
; COMPUTE_PGM_RSRC3_GFX90A:ACCUM_OFFSET: 3
; COMPUTE_PGM_RSRC3_GFX90A:TG_SPLIT: 0
	.section	.text._ZL33flash_attn_stream_k_fixup_generalILi128ELi2ELi1EEvPfPK15HIP_vector_typeIfLj2EEiiiiS1_IjLj3EES5_S5_S5_,"axG",@progbits,_ZL33flash_attn_stream_k_fixup_generalILi128ELi2ELi1EEvPfPK15HIP_vector_typeIfLj2EEiiiiS1_IjLj3EES5_S5_S5_,comdat
	.globl	_ZL33flash_attn_stream_k_fixup_generalILi128ELi2ELi1EEvPfPK15HIP_vector_typeIfLj2EEiiiiS1_IjLj3EES5_S5_S5_ ; -- Begin function _ZL33flash_attn_stream_k_fixup_generalILi128ELi2ELi1EEvPfPK15HIP_vector_typeIfLj2EEiiiiS1_IjLj3EES5_S5_S5_
	.p2align	8
	.type	_ZL33flash_attn_stream_k_fixup_generalILi128ELi2ELi1EEvPfPK15HIP_vector_typeIfLj2EEiiiiS1_IjLj3EES5_S5_S5_,@function
_ZL33flash_attn_stream_k_fixup_generalILi128ELi2ELi1EEvPfPK15HIP_vector_typeIfLj2EEiiiiS1_IjLj3EES5_S5_S5_: ; @_ZL33flash_attn_stream_k_fixup_generalILi128ELi2ELi1EEvPfPK15HIP_vector_typeIfLj2EEiiiiS1_IjLj3EES5_S5_S5_
; %bb.0:
	s_load_dwordx4 s[12:15], s[0:1], 0x10
	s_load_dword s5, s[0:1], 0x50
	s_mov_b32 s8, 0
	s_waitcnt lgkmcnt(0)
	s_mul_hi_i32 s9, s15, s2
	s_cmp_lg_u64 s[8:9], 0
	s_mul_i32 s8, s15, s2
	s_cbranch_scc0 .LBB21_21
; %bb.1:
	v_cvt_f32_u32_e32 v1, s5
	v_cvt_f32_ubyte0_e32 v2, 0
	s_sub_u32 s10, 0, s5
	s_subb_u32 s11, 0, 0
	v_fmamk_f32 v1, v2, 0x4f800000, v1
	v_rcp_f32_e32 v1, v1
	s_nop 0
	v_mul_f32_e32 v1, 0x5f7ffffc, v1
	v_mul_f32_e32 v2, 0x2f800000, v1
	v_trunc_f32_e32 v2, v2
	v_fmamk_f32 v1, v2, 0xcf800000, v1
	v_cvt_u32_f32_e32 v2, v2
	v_cvt_u32_f32_e32 v1, v1
	v_readfirstlane_b32 s16, v2
	v_readfirstlane_b32 s17, v1
	s_mul_i32 s18, s10, s16
	s_mul_hi_u32 s20, s10, s17
	s_mul_i32 s19, s11, s17
	s_add_i32 s18, s20, s18
	s_add_i32 s18, s18, s19
	s_mul_i32 s21, s10, s17
	s_mul_hi_u32 s19, s17, s18
	s_mul_i32 s20, s17, s18
	s_mul_hi_u32 s17, s17, s21
	s_add_u32 s17, s17, s20
	s_addc_u32 s19, 0, s19
	s_mul_hi_u32 s22, s16, s21
	s_mul_i32 s21, s16, s21
	s_add_u32 s17, s17, s21
	s_mul_hi_u32 s20, s16, s18
	s_addc_u32 s17, s19, s22
	s_addc_u32 s19, s20, 0
	s_mul_i32 s18, s16, s18
	s_add_u32 s17, s17, s18
	s_addc_u32 s18, 0, s19
	v_add_co_u32_e32 v1, vcc, s17, v1
	s_cmp_lg_u64 vcc, 0
	s_addc_u32 s16, s16, s18
	v_readfirstlane_b32 s18, v1
	s_mul_i32 s17, s10, s16
	s_mul_hi_u32 s19, s10, s18
	s_add_i32 s17, s19, s17
	s_mul_i32 s11, s11, s18
	s_add_i32 s17, s17, s11
	s_mul_i32 s10, s10, s18
	s_mul_hi_u32 s19, s16, s10
	s_mul_i32 s20, s16, s10
	s_mul_i32 s22, s18, s17
	s_mul_hi_u32 s10, s18, s10
	s_mul_hi_u32 s21, s18, s17
	s_add_u32 s10, s10, s22
	s_addc_u32 s18, 0, s21
	s_add_u32 s10, s10, s20
	s_mul_hi_u32 s11, s16, s17
	s_addc_u32 s10, s18, s19
	s_addc_u32 s11, s11, 0
	s_mul_i32 s17, s16, s17
	s_add_u32 s10, s10, s17
	s_addc_u32 s11, 0, s11
	v_add_co_u32_e32 v1, vcc, s10, v1
	s_cmp_lg_u64 vcc, 0
	s_addc_u32 s18, s16, s11
	s_ashr_i32 s10, s9, 31
	s_add_u32 s16, s8, s10
	s_mov_b32 s11, s10
	s_addc_u32 s17, s9, s10
	s_xor_b64 s[16:17], s[16:17], s[10:11]
	v_readfirstlane_b32 s20, v1
	s_mul_i32 s19, s16, s18
	s_mul_hi_u32 s21, s16, s20
	s_mul_hi_u32 s9, s16, s18
	s_add_u32 s19, s21, s19
	s_addc_u32 s9, 0, s9
	s_mul_hi_u32 s22, s17, s20
	s_mul_i32 s20, s17, s20
	s_add_u32 s19, s19, s20
	s_mul_hi_u32 s21, s17, s18
	s_addc_u32 s9, s9, s22
	s_addc_u32 s19, s21, 0
	s_mul_i32 s18, s17, s18
	s_add_u32 s9, s9, s18
	s_addc_u32 s18, 0, s19
	s_add_u32 s19, s9, 1
	s_addc_u32 s20, s18, 0
	s_add_u32 s21, s9, 2
	s_mul_i32 s23, s5, s18
	s_mul_hi_u32 s24, s5, s9
	s_addc_u32 s22, s18, 0
	s_add_i32 s24, s24, s23
	s_mul_i32 s23, s5, s9
	v_mov_b32_e32 v1, s23
	v_sub_co_u32_e32 v1, vcc, s16, v1
	s_cmp_lg_u64 vcc, 0
	s_subb_u32 s16, s17, s24
	v_subrev_co_u32_e32 v2, vcc, s5, v1
	s_cmp_lg_u64 vcc, 0
	s_subb_u32 s17, s16, 0
	v_readfirstlane_b32 s23, v2
	s_cmp_ge_u32 s23, s5
	s_cselect_b32 s23, -1, 0
	s_cmp_eq_u32 s17, 0
	s_cselect_b32 s17, s23, -1
	s_cmp_lg_u32 s17, 0
	s_cselect_b32 s17, s22, s20
	v_readfirstlane_b32 s20, v1
	s_cselect_b32 s19, s21, s19
	s_cmp_ge_u32 s20, s5
	s_cselect_b32 s20, -1, 0
	s_cmp_eq_u32 s16, 0
	s_cselect_b32 s16, s20, -1
	s_cmp_lg_u32 s16, 0
	s_cselect_b32 s17, s17, s18
	s_cselect_b32 s16, s19, s9
	s_xor_b64 s[16:17], s[16:17], s[10:11]
	s_sub_u32 s20, s16, s10
	s_load_dwordx4 s[16:19], s[0:1], 0x44
	s_cbranch_execnz .LBB21_3
.LBB21_2:
	v_cvt_f32_u32_e32 v1, s5
	s_sub_i32 s6, 0, s5
	v_rcp_iflag_f32_e32 v1, v1
	s_nop 0
	v_mul_f32_e32 v1, 0x4f7ffffe, v1
	v_cvt_u32_f32_e32 v1, v1
	s_nop 0
	v_readfirstlane_b32 s7, v1
	s_mul_i32 s6, s6, s7
	s_mul_hi_u32 s6, s7, s6
	s_add_i32 s7, s7, s6
	s_mul_hi_u32 s6, s8, s7
	s_mul_i32 s9, s6, s5
	s_sub_i32 s8, s8, s9
	s_add_i32 s7, s6, 1
	s_sub_i32 s9, s8, s5
	s_cmp_ge_u32 s8, s5
	s_cselect_b32 s6, s7, s6
	s_cselect_b32 s8, s9, s8
	s_add_i32 s7, s6, 1
	s_cmp_ge_u32 s8, s5
	s_cselect_b32 s20, s7, s6
.LBB21_3:
	s_add_i32 s6, s2, 1
	s_mul_hi_i32 s9, s15, s6
	s_mov_b32 s8, 0
	s_cmp_lg_u64 s[8:9], 0
	s_mul_i32 s8, s15, s6
	s_cbranch_scc0 .LBB21_22
; %bb.4:
	v_cvt_f32_u32_e32 v1, s5
	v_cvt_f32_ubyte0_e32 v2, 0
	s_sub_u32 s10, 0, s5
	s_subb_u32 s11, 0, 0
	v_fmamk_f32 v1, v2, 0x4f800000, v1
	v_rcp_f32_e32 v1, v1
	s_nop 0
	v_mul_f32_e32 v1, 0x5f7ffffc, v1
	v_mul_f32_e32 v2, 0x2f800000, v1
	v_trunc_f32_e32 v2, v2
	v_fmamk_f32 v1, v2, 0xcf800000, v1
	v_cvt_u32_f32_e32 v2, v2
	v_cvt_u32_f32_e32 v1, v1
	s_waitcnt lgkmcnt(0)
	v_readfirstlane_b32 s19, v2
	v_readfirstlane_b32 s21, v1
	s_mul_i32 s22, s10, s19
	s_mul_hi_u32 s24, s10, s21
	s_mul_i32 s23, s11, s21
	s_add_i32 s22, s24, s22
	s_add_i32 s22, s22, s23
	s_mul_i32 s25, s10, s21
	s_mul_hi_u32 s23, s21, s22
	s_mul_i32 s24, s21, s22
	s_mul_hi_u32 s21, s21, s25
	s_add_u32 s21, s21, s24
	s_addc_u32 s23, 0, s23
	s_mul_hi_u32 s26, s19, s25
	s_mul_i32 s25, s19, s25
	s_add_u32 s21, s21, s25
	s_mul_hi_u32 s24, s19, s22
	s_addc_u32 s21, s23, s26
	s_addc_u32 s23, s24, 0
	s_mul_i32 s22, s19, s22
	s_add_u32 s21, s21, s22
	s_addc_u32 s22, 0, s23
	v_add_co_u32_e32 v1, vcc, s21, v1
	s_cmp_lg_u64 vcc, 0
	s_addc_u32 s19, s19, s22
	v_readfirstlane_b32 s22, v1
	s_mul_i32 s21, s10, s19
	s_mul_hi_u32 s23, s10, s22
	s_add_i32 s21, s23, s21
	s_mul_i32 s11, s11, s22
	s_add_i32 s21, s21, s11
	s_mul_i32 s10, s10, s22
	s_mul_hi_u32 s23, s19, s10
	s_mul_i32 s24, s19, s10
	s_mul_i32 s26, s22, s21
	s_mul_hi_u32 s10, s22, s10
	s_mul_hi_u32 s25, s22, s21
	s_add_u32 s10, s10, s26
	s_addc_u32 s22, 0, s25
	s_add_u32 s10, s10, s24
	s_mul_hi_u32 s11, s19, s21
	s_addc_u32 s10, s22, s23
	s_addc_u32 s11, s11, 0
	s_mul_i32 s21, s19, s21
	s_add_u32 s10, s10, s21
	s_addc_u32 s11, 0, s11
	v_add_co_u32_e32 v1, vcc, s10, v1
	s_cmp_lg_u64 vcc, 0
	s_addc_u32 s19, s19, s11
	s_ashr_i32 s10, s9, 31
	s_add_u32 s22, s8, s10
	s_mov_b32 s11, s10
	s_addc_u32 s23, s9, s10
	s_xor_b64 s[22:23], s[22:23], s[10:11]
	v_readfirstlane_b32 s21, v1
	s_mul_i32 s11, s22, s19
	s_mul_hi_u32 s24, s22, s21
	s_mul_hi_u32 s9, s22, s19
	s_add_u32 s11, s24, s11
	s_addc_u32 s9, 0, s9
	s_mul_hi_u32 s25, s23, s21
	s_mul_i32 s21, s23, s21
	s_add_u32 s11, s11, s21
	s_mul_hi_u32 s24, s23, s19
	s_addc_u32 s9, s9, s25
	s_addc_u32 s11, s24, 0
	s_mul_i32 s19, s23, s19
	s_add_u32 s9, s9, s19
	s_addc_u32 s11, 0, s11
	s_mul_i32 s11, s5, s11
	s_mul_hi_u32 s24, s5, s9
	s_add_i32 s24, s24, s11
	s_mul_i32 s11, s5, s9
	v_mov_b32_e32 v1, s11
	s_add_u32 s19, s9, 1
	s_add_u32 s21, s9, 2
	v_sub_co_u32_e32 v1, vcc, s22, v1
	s_cmp_lg_u64 vcc, 0
	s_subb_u32 s11, s23, s24
	v_subrev_co_u32_e32 v2, vcc, s5, v1
	s_cmp_lg_u64 vcc, 0
	s_subb_u32 s22, s11, 0
	v_cmp_le_u32_e32 vcc, s5, v2
	s_cmp_eq_u32 s22, 0
	v_mov_b32_e32 v3, s19
	v_cndmask_b32_e64 v2, 0, -1, vcc
	s_cselect_b64 vcc, -1, 0
	v_cndmask_b32_e32 v2, -1, v2, vcc
	v_mov_b32_e32 v4, s21
	v_cmp_ne_u32_e32 vcc, 0, v2
	s_cmp_eq_u32 s11, 0
	s_nop 0
	v_cndmask_b32_e32 v2, v3, v4, vcc
	v_cmp_le_u32_e32 vcc, s5, v1
	v_mov_b32_e32 v3, s9
	s_nop 0
	v_cndmask_b32_e64 v1, 0, -1, vcc
	s_cselect_b64 vcc, -1, 0
	v_cndmask_b32_e32 v1, -1, v1, vcc
	v_cmp_ne_u32_e32 vcc, 0, v1
	s_nop 1
	v_cndmask_b32_e32 v1, v3, v2, vcc
	v_xor_b32_e32 v1, s10, v1
	v_subrev_co_u32_e32 v2, vcc, s10, v1
	s_cbranch_execnz .LBB21_6
.LBB21_5:
	v_cvt_f32_u32_e32 v1, s5
	s_sub_i32 s6, 0, s5
	s_mov_b32 s7, 0
	v_rcp_iflag_f32_e32 v1, v1
	s_nop 0
	v_mul_f32_e32 v1, 0x4f7ffffe, v1
	v_cvt_u32_f32_e32 v1, v1
	s_nop 0
	v_readfirstlane_b32 s9, v1
	s_mul_i32 s6, s6, s9
	s_mul_hi_u32 s6, s9, s6
	s_add_i32 s9, s9, s6
	s_mul_hi_u32 s6, s8, s9
	s_mul_i32 s10, s6, s5
	s_sub_i32 s8, s8, s10
	s_add_i32 s9, s6, 1
	s_sub_i32 s10, s8, s5
	s_cmp_ge_u32 s8, s5
	s_cselect_b32 s6, s9, s6
	s_cselect_b32 s8, s10, s8
	s_add_i32 s9, s6, 1
	s_cmp_ge_u32 s8, s5
	s_cselect_b32 s6, s9, s6
	v_mov_b64_e32 v[2:3], s[6:7]
.LBB21_6:
	s_waitcnt lgkmcnt(0)
	s_mul_hi_u32 s6, s20, s16
	s_add_i32 s6, s6, s20
	v_mul_hi_u32 v1, v2, s16
	s_lshr_b32 s19, s6, s17
	v_add_u32_e32 v1, v1, v2
	s_mul_i32 s6, s19, s18
	v_lshrrev_b32_e32 v1, s17, v1
	s_cmp_eq_u32 s6, s20
	v_cmp_eq_u32_e64 s[6:7], s19, v1
	v_mul_lo_u32 v1, v1, s18
	v_cmp_eq_u32_e32 vcc, s20, v2
	s_cselect_b64 s[10:11], -1, 0
	v_cmp_ne_u32_e64 s[8:9], v1, v2
	s_and_b64 s[6:7], s[6:7], s[8:9]
	s_or_b64 s[8:9], vcc, s[10:11]
	s_or_b64 s[6:7], s[8:9], s[6:7]
	s_and_b64 vcc, exec, s[6:7]
	s_cbranch_vccnz .LBB21_24
; %bb.7:
	s_load_dwordx8 s[24:31], s[0:1], 0x20
	s_load_dword s6, s[0:1], 0x40
	s_waitcnt lgkmcnt(0)
	s_mul_hi_u32 s7, s20, s24
	s_add_i32 s7, s7, s20
	s_lshr_b32 s7, s7, s25
	s_mul_i32 s8, s7, s26
	s_sub_i32 s8, s20, s8
	s_mul_hi_u32 s9, s8, s27
	s_add_i32 s9, s8, s9
	s_lshr_b32 s23, s9, s28
	s_mul_i32 s9, s23, s29
	s_sub_i32 s8, s8, s9
	;; [unrolled: 5-line block ×3, first 2 shown]
	s_mul_hi_u32 s8, s6, s16
	s_add_i32 s6, s6, s8
	s_lshr_b32 s24, s6, s17
	s_lshl_b32 s6, s24, 1
	s_add_i32 s6, s6, s3
	s_cmp_lt_i32 s6, s12
	s_cselect_b64 s[8:9], -1, 0
	s_add_i32 s6, s22, s4
	s_cmp_lt_i32 s6, s14
	s_cselect_b64 s[10:11], -1, 0
	s_and_b64 s[8:9], s[8:9], s[10:11]
	s_andn2_b64 vcc, exec, s[8:9]
	s_mov_b32 s6, 0
	s_cbranch_vccnz .LBB21_24
; %bb.8:
	s_load_dwordx4 s[8:11], s[0:1], 0x0
	s_lshl_b32 s0, s5, 3
	s_mov_b32 s1, s6
	s_add_i32 s21, s3, s4
	s_lshl_b64 s[0:1], s[0:1], 2
	s_waitcnt lgkmcnt(0)
	v_mov_b32_e32 v2, s8
	s_add_u32 s8, s10, s0
	s_mul_i32 s0, s7, s12
	v_mov_b32_e32 v3, s9
	s_addc_u32 s9, s11, s1
	s_add_i32 s0, s0, s3
	s_mul_i32 s0, s0, s13
	s_mul_i32 s23, s23, s14
	s_add_i32 s0, s0, s4
	s_add_i32 s0, s0, s23
	s_mul_i32 s1, s13, s24
	s_add_i32 s0, s0, s22
	s_lshl_b32 s1, s1, 8
	s_lshl_b32 s0, s0, 7
	s_add_i32 s1, s1, s0
	v_or_b32_e32 v4, s1, v0
	v_ashrrev_i32_e32 v5, 31, v4
	v_lshl_add_u64 v[2:3], v[4:5], 2, v[2:3]
	global_load_dword v5, v[2:3], off
	v_lshl_or_b32 v4, s21, 7, v0
	v_cvt_f32_u32_e32 v0, s5
	v_cvt_f32_ubyte0_e32 v1, 0
	s_lshl_b32 s0, s2, 1
	s_add_i32 s0, s0, s21
	v_fmac_f32_e32 v0, 0x4f800000, v1
	v_rcp_f32_e32 v0, v0
	v_cvt_f32_u32_e32 v1, s5
	s_ashr_i32 s1, s0, 31
	s_lshl_b64 s[0:1], s[0:1], 3
	v_mul_f32_e32 v0, 0x5f7ffffc, v0
	v_rcp_iflag_f32_e32 v1, v1
	s_add_u32 s0, s10, s0
	v_mul_f32_e32 v9, 0x2f800000, v0
	s_addc_u32 s1, s11, s1
	v_trunc_f32_e32 v10, v9
	s_load_dwordx2 s[0:1], s[0:1], 0x0
	v_fmac_f32_e32 v0, 0xcf800000, v10
	v_cvt_u32_f32_e32 v9, v0
	v_mul_f32_e32 v0, 0x4f7ffffe, v1
	v_cvt_u32_f32_e32 v10, v10
	v_cvt_u32_f32_e32 v11, v0
	s_add_i32 s13, s2, -1
	s_waitcnt lgkmcnt(0)
	v_mov_b32_e32 v6, s1
	v_mov_b32_e32 v7, s0
	;; [unrolled: 1-line block ×3, first 2 shown]
	s_mov_b32 s4, 0x3fb8aa3b
	s_mov_b32 s12, 0xc2ce8ed0
	;; [unrolled: 1-line block ×4, first 2 shown]
	v_mov_b32_e32 v12, 0x7f800000
	s_mul_hi_i32 s7, s13, s15
	s_cmp_lg_u64 s[6:7], 0
	s_mul_i32 s2, s13, s15
	s_cbranch_scc0 .LBB21_15
.LBB21_9:
	s_sub_u32 s0, 0, s5
	v_readfirstlane_b32 s3, v9
	v_readfirstlane_b32 s24, v10
	s_subb_u32 s1, 0, 0
	s_mul_hi_u32 s23, s0, s3
	s_mul_i32 s25, s0, s24
	s_mul_i32 s22, s1, s3
	s_add_i32 s23, s23, s25
	s_add_i32 s23, s23, s22
	s_mul_i32 s26, s0, s3
	s_mul_hi_u32 s22, s3, s23
	s_mul_i32 s25, s3, s23
	s_mul_hi_u32 s3, s3, s26
	s_add_u32 s3, s3, s25
	s_addc_u32 s22, 0, s22
	s_mul_hi_u32 s27, s24, s26
	s_mul_i32 s26, s24, s26
	s_add_u32 s3, s3, s26
	s_mul_hi_u32 s25, s24, s23
	s_addc_u32 s3, s22, s27
	s_addc_u32 s22, s25, 0
	s_mul_i32 s23, s24, s23
	s_add_u32 s3, s3, s23
	s_addc_u32 s22, 0, s22
	v_add_co_u32_e32 v0, vcc, s3, v9
	s_cmp_lg_u64 vcc, 0
	s_addc_u32 s3, s24, s22
	v_readfirstlane_b32 s23, v0
	s_mul_i32 s22, s0, s3
	s_mul_hi_u32 s24, s0, s23
	s_add_i32 s22, s24, s22
	s_mul_i32 s1, s1, s23
	s_add_i32 s22, s22, s1
	s_mul_i32 s0, s0, s23
	s_mul_hi_u32 s24, s3, s0
	s_mul_i32 s25, s3, s0
	s_mul_i32 s27, s23, s22
	s_mul_hi_u32 s0, s23, s0
	s_mul_hi_u32 s26, s23, s22
	s_add_u32 s0, s0, s27
	s_addc_u32 s23, 0, s26
	s_add_u32 s0, s0, s25
	s_mul_hi_u32 s1, s3, s22
	s_addc_u32 s0, s23, s24
	s_addc_u32 s1, s1, 0
	s_mul_i32 s22, s3, s22
	s_add_u32 s0, s0, s22
	s_addc_u32 s1, 0, s1
	v_add_co_u32_e32 v0, vcc, s0, v0
	s_cmp_lg_u64 vcc, 0
	s_addc_u32 s3, s3, s1
	s_ashr_i32 s0, s7, 31
	s_add_u32 s22, s2, s0
	s_mov_b32 s1, s0
	s_addc_u32 s23, s7, s0
	s_xor_b64 s[22:23], s[22:23], s[0:1]
	v_readfirstlane_b32 s24, v0
	s_mul_i32 s7, s22, s3
	s_mul_hi_u32 s25, s22, s24
	s_mul_hi_u32 s1, s22, s3
	s_add_u32 s7, s25, s7
	s_addc_u32 s1, 0, s1
	s_mul_hi_u32 s26, s23, s24
	s_mul_i32 s24, s23, s24
	s_add_u32 s7, s7, s24
	s_mul_hi_u32 s25, s23, s3
	s_addc_u32 s1, s1, s26
	s_addc_u32 s7, s25, 0
	s_mul_i32 s3, s23, s3
	s_add_u32 s1, s1, s3
	s_addc_u32 s3, 0, s7
	s_mul_i32 s3, s5, s3
	s_mul_hi_u32 s25, s5, s1
	s_add_i32 s25, s25, s3
	s_mul_i32 s3, s5, s1
	v_mov_b32_e32 v0, s3
	s_add_u32 s7, s1, 1
	s_add_u32 s24, s1, 2
	v_sub_co_u32_e32 v0, vcc, s22, v0
	s_cmp_lg_u64 vcc, 0
	s_subb_u32 s3, s23, s25
	v_subrev_co_u32_e32 v1, vcc, s5, v0
	s_cmp_lg_u64 vcc, 0
	s_subb_u32 s22, s3, 0
	v_cmp_le_u32_e32 vcc, s5, v1
	s_cmp_eq_u32 s22, 0
	v_mov_b32_e32 v13, s7
	v_cndmask_b32_e64 v1, 0, -1, vcc
	s_cselect_b64 vcc, -1, 0
	v_cndmask_b32_e32 v1, -1, v1, vcc
	v_mov_b32_e32 v14, s24
	v_cmp_ne_u32_e32 vcc, 0, v1
	s_cmp_eq_u32 s3, 0
	s_nop 0
	v_cndmask_b32_e32 v1, v13, v14, vcc
	v_cmp_le_u32_e32 vcc, s5, v0
	v_mov_b32_e32 v13, s1
	s_nop 0
	v_cndmask_b32_e64 v0, 0, -1, vcc
	s_cselect_b64 vcc, -1, 0
	v_cndmask_b32_e32 v0, -1, v0, vcc
	v_cmp_ne_u32_e32 vcc, 0, v0
	s_nop 1
	v_cndmask_b32_e32 v0, v13, v1, vcc
	v_xor_b32_e32 v0, s0, v0
	v_subrev_co_u32_e32 v0, vcc, s0, v0
	s_cbranch_execnz .LBB21_11
.LBB21_10:
	s_sub_i32 s0, 0, s5
	v_mul_lo_u32 v0, s0, v11
	v_mul_hi_u32 v0, v11, v0
	v_add_u32_e32 v0, v11, v0
	v_mul_hi_u32 v0, s2, v0
	v_mul_lo_u32 v13, v0, s5
	v_sub_u32_e32 v13, s2, v13
	v_add_u32_e32 v1, 1, v0
	v_subrev_u32_e32 v14, s5, v13
	v_cmp_le_u32_e32 vcc, s5, v13
	s_nop 1
	v_cndmask_b32_e32 v13, v13, v14, vcc
	v_cndmask_b32_e32 v0, v0, v1, vcc
	v_add_u32_e32 v1, 1, v0
	v_cmp_le_u32_e32 vcc, s5, v13
	s_nop 1
	v_cndmask_b32_e32 v0, v0, v1, vcc
.LBB21_11:
	v_cmp_ne_u32_e32 vcc, v8, v0
	s_cbranch_vccz .LBB21_14
; %bb.12:
	s_add_i32 s0, s13, s5
	s_lshl_b32 s0, s0, 1
	v_mul_hi_u32 v1, v0, s16
	s_add_i32 s0, s0, s21
	s_mov_b32 s1, s6
	v_add_u32_e32 v1, v1, v0
	s_lshl_b64 s[0:1], s[0:1], 3
	v_lshrrev_b32_e32 v1, s17, v1
	s_add_u32 s2, s10, s0
	v_mul_lo_u32 v13, v1, s18
	s_addc_u32 s3, s11, s1
	v_cmp_eq_u32_e32 vcc, v13, v0
	v_cmp_gt_u32_e64 s[0:1], s19, v1
	s_or_b64 s[0:1], s[0:1], vcc
	s_and_b64 vcc, exec, s[0:1]
	s_cbranch_vccnz .LBB21_16
; %bb.13:
	s_add_i32 s7, s13, -1
	s_mov_b64 s[0:1], 0
	s_branch .LBB21_17
.LBB21_14:
                                        ; implicit-def: $sgpr0_sgpr1
                                        ; implicit-def: $vgpr14
                                        ; implicit-def: $vgpr1
                                        ; implicit-def: $vgpr13
                                        ; implicit-def: $sgpr7
                                        ; implicit-def: $vgpr0
	s_branch .LBB21_18
.LBB21_15:
                                        ; implicit-def: $vgpr0_vgpr1
	s_branch .LBB21_10
.LBB21_16:
	s_mov_b64 s[0:1], -1
	s_mov_b32 s7, s13
	v_mov_b32_e32 v0, v8
.LBB21_17:
	v_lshl_add_u32 v14, s13, 8, v4
	v_ashrrev_i32_e32 v15, 31, v14
	v_lshl_add_u64 v[14:15], v[14:15], 2, s[8:9]
	global_load_dword v14, v[14:15], off
	s_load_dwordx2 s[2:3], s[2:3], 0x0
	v_max_f32_e32 v1, v7, v7
	s_waitcnt lgkmcnt(0)
	v_max_f32_e64 v13, s2, s2
	v_max_f32_e32 v1, v1, v13
	v_sub_f32_e32 v13, v7, v1
	v_sub_f32_e32 v15, s2, v1
	v_mul_f32_e32 v16, 0x3fb8aa3b, v13
	v_mul_f32_e32 v17, 0x3fb8aa3b, v15
	v_fma_f32 v18, v13, s4, -v16
	v_rndne_f32_e32 v19, v16
	v_fma_f32 v20, v15, s4, -v17
	v_rndne_f32_e32 v21, v17
	v_fmac_f32_e32 v18, 0x32a5705f, v13
	v_sub_f32_e32 v16, v16, v19
	v_fmac_f32_e32 v20, 0x32a5705f, v15
	v_sub_f32_e32 v17, v17, v21
	v_add_f32_e32 v16, v16, v18
	v_cvt_i32_f32_e32 v19, v19
	v_add_f32_e32 v17, v17, v20
	v_exp_f32_e32 v16, v16
	v_cvt_i32_f32_e32 v21, v21
	v_exp_f32_e32 v17, v17
	v_cmp_ngt_f32_e32 vcc, s12, v13
	v_ldexp_f32 v16, v16, v19
	v_ldexp_f32 v17, v17, v21
	v_cndmask_b32_e32 v16, 0, v16, vcc
	v_cmp_ngt_f32_e32 vcc, s12, v15
	s_nop 1
	v_cndmask_b32_e32 v17, 0, v17, vcc
	v_cmp_nlt_f32_e32 vcc, s14, v13
	s_nop 1
	v_cndmask_b32_e32 v16, v12, v16, vcc
	v_cmp_nlt_f32_e32 vcc, s14, v15
	s_nop 1
	v_cndmask_b32_e32 v17, v12, v17, vcc
	v_cmp_le_f32_e32 vcc, s20, v13
	s_nop 1
	v_cndmask_b32_e32 v16, 0, v16, vcc
	v_cmp_le_f32_e32 vcc, s20, v15
	s_nop 1
	v_cndmask_b32_e32 v15, 0, v17, vcc
	v_mul_f32_e32 v13, s3, v15
	v_fmac_f32_e32 v13, v6, v16
	s_waitcnt vmcnt(0)
	v_mul_f32_e32 v14, v14, v15
	v_fmac_f32_e32 v14, v5, v16
	s_cbranch_execnz .LBB21_19
.LBB21_18:
	s_add_i32 s7, s13, -1
	s_mov_b64 s[0:1], 0
	v_mov_b32_e32 v0, v8
	v_mov_b32_e32 v13, v6
	;; [unrolled: 1-line block ×3, first 2 shown]
	s_waitcnt vmcnt(0)
	v_mov_b32_e32 v14, v5
.LBB21_19:
	s_andn2_b64 vcc, exec, s[0:1]
	s_cbranch_vccz .LBB21_23
; %bb.20:
	v_mov_b32_e32 v8, v0
	s_mov_b32 s13, s7
	v_mov_b32_e32 v6, v13
	v_mov_b32_e32 v7, v1
	s_waitcnt vmcnt(0)
	v_mov_b32_e32 v5, v14
	s_mul_hi_i32 s7, s13, s15
	s_cmp_lg_u64 s[6:7], 0
	s_mul_i32 s2, s13, s15
	s_cbranch_scc1 .LBB21_9
	s_branch .LBB21_15
.LBB21_21:
                                        ; implicit-def: $sgpr20_sgpr21
	s_load_dwordx4 s[16:19], s[0:1], 0x44
	s_branch .LBB21_2
.LBB21_22:
                                        ; implicit-def: $vgpr2_vgpr3
	s_branch .LBB21_5
.LBB21_23:
	v_div_scale_f32 v0, s[0:1], v13, v13, v14
	v_rcp_f32_e32 v1, v0
	v_div_scale_f32 v4, vcc, v14, v13, v14
	s_waitcnt vmcnt(0)
	v_fma_f32 v5, -v0, v1, 1.0
	v_fmac_f32_e32 v1, v5, v1
	v_mul_f32_e32 v5, v4, v1
	v_fma_f32 v6, -v0, v5, v4
	v_fmac_f32_e32 v5, v6, v1
	v_fma_f32 v0, -v0, v5, v4
	v_div_fmas_f32 v0, v0, v1, v5
	v_div_fixup_f32 v0, v0, v13, v14
	global_store_dword v[2:3], v0, off
.LBB21_24:
	s_endpgm
	.section	.rodata,"a",@progbits
	.p2align	6, 0x0
	.amdhsa_kernel _ZL33flash_attn_stream_k_fixup_generalILi128ELi2ELi1EEvPfPK15HIP_vector_typeIfLj2EEiiiiS1_IjLj3EES5_S5_S5_
		.amdhsa_group_segment_fixed_size 0
		.amdhsa_private_segment_fixed_size 0
		.amdhsa_kernarg_size 336
		.amdhsa_user_sgpr_count 2
		.amdhsa_user_sgpr_dispatch_ptr 0
		.amdhsa_user_sgpr_queue_ptr 0
		.amdhsa_user_sgpr_kernarg_segment_ptr 1
		.amdhsa_user_sgpr_dispatch_id 0
		.amdhsa_user_sgpr_kernarg_preload_length 0
		.amdhsa_user_sgpr_kernarg_preload_offset 0
		.amdhsa_user_sgpr_private_segment_size 0
		.amdhsa_uses_dynamic_stack 0
		.amdhsa_enable_private_segment 0
		.amdhsa_system_sgpr_workgroup_id_x 1
		.amdhsa_system_sgpr_workgroup_id_y 1
		.amdhsa_system_sgpr_workgroup_id_z 1
		.amdhsa_system_sgpr_workgroup_info 0
		.amdhsa_system_vgpr_workitem_id 0
		.amdhsa_next_free_vgpr 22
		.amdhsa_next_free_sgpr 32
		.amdhsa_accum_offset 24
		.amdhsa_reserve_vcc 1
		.amdhsa_float_round_mode_32 0
		.amdhsa_float_round_mode_16_64 0
		.amdhsa_float_denorm_mode_32 3
		.amdhsa_float_denorm_mode_16_64 3
		.amdhsa_dx10_clamp 1
		.amdhsa_ieee_mode 1
		.amdhsa_fp16_overflow 0
		.amdhsa_tg_split 0
		.amdhsa_exception_fp_ieee_invalid_op 0
		.amdhsa_exception_fp_denorm_src 0
		.amdhsa_exception_fp_ieee_div_zero 0
		.amdhsa_exception_fp_ieee_overflow 0
		.amdhsa_exception_fp_ieee_underflow 0
		.amdhsa_exception_fp_ieee_inexact 0
		.amdhsa_exception_int_div_zero 0
	.end_amdhsa_kernel
	.section	.text._ZL33flash_attn_stream_k_fixup_generalILi128ELi2ELi1EEvPfPK15HIP_vector_typeIfLj2EEiiiiS1_IjLj3EES5_S5_S5_,"axG",@progbits,_ZL33flash_attn_stream_k_fixup_generalILi128ELi2ELi1EEvPfPK15HIP_vector_typeIfLj2EEiiiiS1_IjLj3EES5_S5_S5_,comdat
.Lfunc_end21:
	.size	_ZL33flash_attn_stream_k_fixup_generalILi128ELi2ELi1EEvPfPK15HIP_vector_typeIfLj2EEiiiiS1_IjLj3EES5_S5_S5_, .Lfunc_end21-_ZL33flash_attn_stream_k_fixup_generalILi128ELi2ELi1EEvPfPK15HIP_vector_typeIfLj2EEiiiiS1_IjLj3EES5_S5_S5_
                                        ; -- End function
	.section	.AMDGPU.csdata,"",@progbits
; Kernel info:
; codeLenInByte = 2856
; NumSgprs: 38
; NumVgprs: 22
; NumAgprs: 0
; TotalNumVgprs: 22
; ScratchSize: 0
; MemoryBound: 0
; FloatMode: 240
; IeeeMode: 1
; LDSByteSize: 0 bytes/workgroup (compile time only)
; SGPRBlocks: 4
; VGPRBlocks: 2
; NumSGPRsForWavesPerEU: 38
; NumVGPRsForWavesPerEU: 22
; AccumOffset: 24
; Occupancy: 8
; WaveLimiterHint : 0
; COMPUTE_PGM_RSRC2:SCRATCH_EN: 0
; COMPUTE_PGM_RSRC2:USER_SGPR: 2
; COMPUTE_PGM_RSRC2:TRAP_HANDLER: 0
; COMPUTE_PGM_RSRC2:TGID_X_EN: 1
; COMPUTE_PGM_RSRC2:TGID_Y_EN: 1
; COMPUTE_PGM_RSRC2:TGID_Z_EN: 1
; COMPUTE_PGM_RSRC2:TIDIG_COMP_CNT: 0
; COMPUTE_PGM_RSRC3_GFX90A:ACCUM_OFFSET: 5
; COMPUTE_PGM_RSRC3_GFX90A:TG_SPLIT: 0
	.section	.text._ZL18flash_attn_ext_vecILi128ELi2EL9ggml_type2ELS0_30ELb1EEvPKcS2_S2_S2_S2_PKiPfP15HIP_vector_typeIfLj2EEffffjfiS6_IjLj3EEiiiiiiiiiiiliiliiiiil,"axG",@progbits,_ZL18flash_attn_ext_vecILi128ELi2EL9ggml_type2ELS0_30ELb1EEvPKcS2_S2_S2_S2_PKiPfP15HIP_vector_typeIfLj2EEffffjfiS6_IjLj3EEiiiiiiiiiiiliiliiiiil,comdat
	.globl	_ZL18flash_attn_ext_vecILi128ELi2EL9ggml_type2ELS0_30ELb1EEvPKcS2_S2_S2_S2_PKiPfP15HIP_vector_typeIfLj2EEffffjfiS6_IjLj3EEiiiiiiiiiiiliiliiiiil ; -- Begin function _ZL18flash_attn_ext_vecILi128ELi2EL9ggml_type2ELS0_30ELb1EEvPKcS2_S2_S2_S2_PKiPfP15HIP_vector_typeIfLj2EEffffjfiS6_IjLj3EEiiiiiiiiiiiliiliiiiil
	.p2align	8
	.type	_ZL18flash_attn_ext_vecILi128ELi2EL9ggml_type2ELS0_30ELb1EEvPKcS2_S2_S2_S2_PKiPfP15HIP_vector_typeIfLj2EEffffjfiS6_IjLj3EEiiiiiiiiiiiliiliiiiil,@function
_ZL18flash_attn_ext_vecILi128ELi2EL9ggml_type2ELS0_30ELb1EEvPKcS2_S2_S2_S2_PKiPfP15HIP_vector_typeIfLj2EEffffjfiS6_IjLj3EEiiiiiiiiiiiliiliiiiil: ; @_ZL18flash_attn_ext_vecILi128ELi2EL9ggml_type2ELS0_30ELb1EEvPKcS2_S2_S2_S2_PKiPfP15HIP_vector_typeIfLj2EEffffjfiS6_IjLj3EEiiiiiiiiiiiliiliiiiil
; %bb.0:
	s_load_dwordx2 s[18:19], s[0:1], 0x64
	s_load_dwordx2 s[56:57], s[0:1], 0x80
	;; [unrolled: 1-line block ×3, first 2 shown]
	s_load_dwordx4 s[12:15], s[0:1], 0x40
	s_load_dwordx2 s[22:23], s[0:1], 0x50
	v_mov_b32_e32 v97, 1.0
	s_waitcnt lgkmcnt(0)
	v_cvt_f32_u32_e32 v1, s19
	s_sub_i32 s5, 0, s19
	v_rcp_iflag_f32_e32 v1, v1
	s_nop 0
	v_mul_f32_e32 v1, 0x4f7ffffe, v1
	v_cvt_u32_f32_e32 v1, v1
	s_nop 0
	v_readfirstlane_b32 s6, v1
	s_mul_i32 s5, s5, s6
	s_mul_hi_u32 s5, s6, s5
	s_add_i32 s6, s6, s5
	s_mul_hi_u32 s5, s4, s6
	s_mul_i32 s6, s5, s19
	s_sub_i32 s6, s4, s6
	s_add_i32 s7, s5, 1
	s_sub_i32 s8, s6, s19
	s_cmp_ge_u32 s6, s19
	s_cselect_b32 s5, s7, s5
	s_cselect_b32 s6, s8, s6
	s_add_i32 s7, s5, 1
	s_cmp_ge_u32 s6, s19
	s_cselect_b32 s33, s7, s5
	s_abs_i32 s5, s57
	v_cvt_f32_u32_e32 v1, s5
	s_mul_i32 s8, s33, s19
	s_sub_i32 s9, 0, s5
	s_sub_i32 s20, s4, s8
	v_rcp_iflag_f32_e32 v1, v1
	s_abs_i32 s7, s19
	s_xor_b32 s6, s19, s57
	s_ashr_i32 s6, s6, 31
	v_mul_f32_e32 v1, 0x4f7ffffe, v1
	v_cvt_u32_f32_e32 v1, v1
	s_nop 0
	v_readfirstlane_b32 s4, v1
	s_mul_i32 s9, s9, s4
	s_mul_hi_u32 s8, s4, s9
	s_add_i32 s4, s4, s8
	s_mul_hi_u32 s4, s7, s4
	s_mul_i32 s8, s4, s5
	s_sub_i32 s7, s7, s8
	s_add_i32 s9, s4, 1
	s_sub_i32 s8, s7, s5
	s_cmp_ge_u32 s7, s5
	s_cselect_b32 s4, s9, s4
	s_cselect_b32 s7, s8, s7
	s_add_i32 s8, s4, 1
	s_cmp_ge_u32 s7, s5
	s_cselect_b32 s4, s8, s4
	s_xor_b32 s4, s4, s6
	s_sub_i32 s26, s4, s6
	s_abs_i32 s10, s10
	s_abs_i32 s25, s26
	v_cvt_f32_u32_e32 v1, s10
	v_cvt_f32_u32_e32 v2, s25
	v_cmp_le_f32_e64 s[4:5], s13, 0
	s_and_b64 vcc, exec, s[4:5]
	v_rcp_iflag_f32_e32 v1, v1
	v_rcp_iflag_f32_e32 v2, v2
	v_mul_f32_e32 v1, 0x4f7ffffe, v1
	v_mul_f32_e32 v2, 0x4f7ffffe, v2
	v_cvt_u32_f32_e32 v1, v1
	v_cvt_u32_f32_e32 v2, v2
	v_readfirstlane_b32 s28, v1
	v_readfirstlane_b32 s29, v2
	s_cbranch_vccnz .LBB22_2
; %bb.1:
	s_sub_i32 s4, s20, s22
	s_lshl_b32 s4, s4, 1
	s_add_i32 s6, s20, 1
	s_or_b32 s7, s4, 1
	s_cmp_lt_u32 s20, s22
	s_cselect_b64 vcc, -1, 0
	s_and_b64 s[4:5], vcc, exec
	v_mov_b32_e32 v1, s15
	v_mov_b32_e32 v2, s14
	s_cselect_b32 s4, s6, s7
	v_cndmask_b32_e32 v18, v1, v2, vcc
	v_cvt_f32_i32_e32 v1, s4
	v_cmp_neq_f32_e32 vcc, 1.0, v18
	s_mov_b32 s4, 0x3f2aaaab
	s_movk_i32 s6, 0x204
	v_cndmask_b32_e32 v19, 1.0, v1, vcc
	v_cmp_eq_f32_e32 vcc, 0, v19
	s_mov_b32 s8, 0x42b17218
	s_mov_b32 s7, 0x7f800000
	v_cndmask_b32_e64 v20, |v18|, 1.0, vcc
	v_frexp_mant_f32_e32 v1, v20
	v_cmp_gt_f32_e64 s[4:5], s4, v1
	s_brev_b32 s14, -2
	s_nop 0
	v_cndmask_b32_e64 v2, 1.0, 2.0, s[4:5]
	v_mul_f32_e32 v1, v1, v2
	v_add_f32_e32 v2, 1.0, v1
	v_rcp_f32_e32 v10, v2
	v_add_f32_e32 v3, -1.0, v2
	v_sub_f32_e32 v5, v1, v3
	v_add_f32_e32 v3, -1.0, v1
	v_mul_f32_e32 v1, v3, v10
	v_mul_f32_e32 v4, v2, v1
	v_fma_f32 v6, v1, v2, -v4
	v_fmac_f32_e32 v6, v1, v5
	v_add_f32_e32 v2, v4, v6
	v_sub_f32_e32 v5, v3, v2
	v_pk_add_f32 v[8:9], v[2:3], v[4:5] neg_lo:[0,1] neg_hi:[0,1]
	v_mov_b32_e32 v7, v2
	v_pk_add_f32 v[2:3], v[8:9], v[6:7] neg_lo:[0,1] neg_hi:[0,1]
	v_mov_b32_e32 v6, 0x3e91f4c4
	v_add_f32_e32 v2, v2, v3
	v_add_f32_e32 v2, v5, v2
	v_mul_f32_e32 v3, v10, v2
	v_add_f32_e32 v2, v1, v3
	v_sub_f32_e32 v1, v2, v1
	v_sub_f32_e32 v1, v3, v1
	v_mul_f32_e32 v3, v2, v2
	v_fma_f32 v5, v2, v2, -v3
	v_add_f32_e32 v4, v1, v1
	v_fmac_f32_e32 v5, v2, v4
	v_add_f32_e32 v4, v3, v5
	v_fmac_f32_e32 v6, 0x3e76c4e1, v4
	v_fmaak_f32 v6, v4, v6, 0x3ecccdef
	v_sub_f32_e32 v3, v4, v3
	v_sub_f32_e32 v12, v5, v3
	v_mul_f32_e32 v3, v4, v6
	v_fma_f32 v5, v4, v6, -v3
	v_fmac_f32_e32 v5, v12, v6
	v_add_f32_e32 v6, v3, v5
	v_add_f32_e32 v7, 0x3f2aaaaa, v6
	v_sub_f32_e32 v3, v6, v3
	v_sub_f32_e32 v3, v5, v3
	v_add_f32_e32 v5, 0xbf2aaaaa, v7
	v_add_f32_e32 v3, 0x31739010, v3
	v_sub_f32_e32 v5, v6, v5
	v_pk_mul_f32 v[8:9], v[2:3], v[4:5]
	v_pk_add_f32 v[10:11], v[2:3], v[4:5]
	v_fma_f32 v6, v4, v2, -v8
	v_fmac_f32_e32 v6, v4, v1
	v_mov_b32_e32 v9, v11
	v_fmac_f32_e32 v6, v12, v2
	v_pk_add_f32 v[4:5], v[8:9], v[6:7]
	v_ldexp_f32 v1, v1, 1
	v_sub_f32_e32 v3, v4, v8
	v_sub_f32_e32 v3, v6, v3
	;; [unrolled: 1-line block ×3, first 2 shown]
	v_add_f32_e32 v9, v11, v6
	v_mov_b32_e32 v6, v5
	v_pk_mul_f32 v[6:7], v[4:5], v[6:7]
	v_cvt_f64_f32_e32 v[10:11], v20
	v_frexp_exp_i32_f64_e32 v7, v[10:11]
	v_subbrev_co_u32_e64 v7, s[4:5], 0, v7, s[4:5]
	v_cvt_f32_i32_e32 v7, v7
	v_fma_f32 v8, v4, v5, -v6
	v_fmac_f32_e32 v8, v4, v9
	s_mov_b32 s4, 0x3f317218
	v_mul_f32_e32 v4, 0x3f317218, v7
	v_fmac_f32_e32 v8, v3, v5
	v_fma_f32 v3, v7, s4, -v4
	v_fmamk_f32 v10, v7, 0xb102e308, v3
	v_ldexp_f32 v11, v2, 1
	v_add_f32_e32 v5, v6, v8
	v_pk_add_f32 v[2:3], v[4:5], v[10:11]
	v_mov_b32_e32 v12, v5
	v_mov_b32_e32 v13, v3
	;; [unrolled: 1-line block ×3, first 2 shown]
	v_pk_add_f32 v[6:7], v[12:13], v[6:7] neg_lo:[0,1] neg_hi:[0,1]
	v_mov_b32_e32 v9, v5
	v_pk_add_f32 v[6:7], v[8:9], v[6:7] neg_lo:[0,1] neg_hi:[0,1]
	v_mov_b32_e32 v11, v2
	v_add_f32_e32 v1, v1, v6
	v_add_f32_e32 v5, v1, v7
	v_pk_add_f32 v[6:7], v[2:3], v[4:5] neg_lo:[0,1] neg_hi:[0,1]
	v_pk_add_f32 v[8:9], v[2:3], v[4:5]
	v_mov_b32_e32 v12, v6
	v_mov_b32_e32 v13, v9
	v_pk_add_f32 v[12:13], v[10:11], v[12:13]
	v_pk_add_f32 v[6:7], v[10:11], v[6:7] neg_lo:[0,1] neg_hi:[0,1]
	v_mov_b32_e32 v4, v13
	v_pk_add_f32 v[14:15], v[4:5], v[2:3] neg_lo:[0,1] neg_hi:[0,1]
	v_mov_b32_e32 v12, v9
	v_mov_b32_e32 v1, v14
	;; [unrolled: 1-line block ×4, first 2 shown]
	v_pk_add_f32 v[16:17], v[8:9], v[0:1] neg_lo:[0,1] neg_hi:[0,1]
	v_pk_add_f32 v[2:3], v[12:13], v[2:3] neg_lo:[0,1] neg_hi:[0,1]
	v_mov_b32_e32 v10, v5
	v_pk_add_f32 v[2:3], v[10:11], v[2:3] neg_lo:[0,1] neg_hi:[0,1]
	v_mov_b32_e32 v16, v6
	v_pk_add_f32 v[8:9], v[16:17], v[2:3]
	v_mov_b32_e32 v7, v13
	v_mov_b32_e32 v10, v9
	v_pk_add_f32 v[10:11], v[8:9], v[10:11]
	s_nop 0
	v_pk_add_f32 v[4:5], v[4:5], v[10:11]
	v_mov_b32_e32 v3, v10
	v_mov_b32_e32 v9, v4
	v_pk_add_f32 v[12:13], v[8:9], v[6:7] neg_lo:[0,1] neg_hi:[0,1]
	s_nop 0
	v_sub_f32_e32 v1, v8, v12
	v_pk_add_f32 v[2:3], v[2:3], v[12:13] neg_lo:[0,1] neg_hi:[0,1]
	v_sub_f32_e32 v1, v6, v1
	v_add_f32_e32 v1, v2, v1
	v_add_f32_e32 v1, v1, v3
	;; [unrolled: 1-line block ×3, first 2 shown]
	v_sub_f32_e32 v3, v2, v4
	v_sub_f32_e32 v1, v1, v3
	v_mul_f32_e32 v3, v19, v2
	v_fma_f32 v2, v19, v2, -v3
	v_fmac_f32_e32 v2, v19, v1
	v_add_f32_e32 v1, v3, v2
	v_cmp_class_f32_e64 s[4:5], v3, s6
	v_sub_f32_e32 v4, v1, v3
	v_sub_f32_e32 v2, v2, v4
	v_cndmask_b32_e64 v1, v1, v3, s[4:5]
	v_mov_b32_e32 v3, 0x37000000
	v_cmp_eq_f32_e64 s[4:5], s8, v1
	s_nop 1
	v_cndmask_b32_e64 v3, 0, v3, s[4:5]
	v_sub_f32_e32 v4, v1, v3
	s_mov_b32 s4, 0x3fb8aa3b
	v_mul_f32_e32 v5, 0x3fb8aa3b, v4
	v_fma_f32 v6, v4, s4, -v5
	v_rndne_f32_e32 v7, v5
	v_fmamk_f32 v6, v4, 0x32a5705f, v6
	v_sub_f32_e32 v5, v5, v7
	v_add_f32_e32 v5, v5, v6
	v_exp_f32_e32 v5, v5
	v_cvt_i32_f32_e32 v6, v7
	v_cmp_neq_f32_e64 s[4:5], |v1|, s7
	s_nop 1
	v_cndmask_b32_e64 v1, 0, v2, s[4:5]
	s_mov_b32 s4, 0xc2ce8ed0
	v_ldexp_f32 v2, v5, v6
	v_cmp_ngt_f32_e64 s[4:5], s4, v4
	v_add_f32_e32 v1, v3, v1
	v_mov_b32_e32 v3, 0x7f800000
	v_cndmask_b32_e64 v2, 0, v2, s[4:5]
	v_cmp_nlt_f32_e64 s[4:5], s8, v4
	v_trunc_f32_e32 v4, v19
	v_mov_b32_e32 v5, 0x7fc00000
	v_cndmask_b32_e64 v2, v3, v2, s[4:5]
	v_fma_f32 v1, v2, v1, v2
	v_cmp_class_f32_e64 s[4:5], v2, s6
	v_cmp_gt_f32_e64 s[8:9], 0, v19
	s_nop 0
	v_cndmask_b32_e64 v1, v1, v2, s[4:5]
	v_cndmask_b32_e64 v2, v18, 1.0, vcc
	v_cmp_eq_f32_e32 vcc, v4, v19
	v_mul_f32_e32 v4, 0.5, v19
	v_trunc_f32_e32 v6, v4
	v_cmp_neq_f32_e64 s[4:5], v6, v4
	s_and_b64 s[4:5], vcc, s[4:5]
	s_nop 0
	v_cndmask_b32_e64 v4, 1.0, v2, s[4:5]
	v_bfi_b32 v1, s14, v1, v4
	v_cndmask_b32_e32 v4, v5, v1, vcc
	v_cmp_gt_f32_e32 vcc, 0, v2
	s_nop 1
	v_cndmask_b32_e32 v1, v1, v4, vcc
	v_cmp_eq_f32_e32 vcc, s7, v20
	v_cmp_eq_f32_e64 s[6:7], 0, v2
	s_xor_b64 s[8:9], s[8:9], s[6:7]
	v_cndmask_b32_e64 v3, v3, 0, s[8:9]
	v_cndmask_b32_e64 v4, 0, v2, s[4:5]
	v_bfi_b32 v3, s14, v3, v4
	s_or_b64 vcc, vcc, s[6:7]
	v_cndmask_b32_e32 v1, v1, v3, vcc
	v_cmp_o_f32_e32 vcc, v2, v2
	s_nop 1
	v_cndmask_b32_e32 v97, v5, v1, vcc
.LBB22_2:
	s_load_dwordx16 s[36:51], s[0:1], 0x0
	s_mov_b32 s4, 0
	s_mov_b32 s5, s4
	v_bfe_u32 v93, v0, 10, 10
	v_and_b32_e32 v92, 0x3ff, v0
	v_mov_b32_e32 v12, 0
	s_mov_b32 s6, s4
	s_mov_b32 s7, s4
	v_mov_b64_e32 v[0:1], s[4:5]
	s_lshl_b32 s22, s2, 1
	v_mov_b64_e32 v[2:3], s[6:7]
	v_mov_b32_e32 v13, v12
	v_mov_b32_e32 v14, v12
	v_cmp_lt_u32_e64 s[16:17], 1, v93
	v_cmp_gt_u32_e32 vcc, 2, v93
	scratch_store_dword off, v12, off
	scratch_store_dwordx4 off, v[0:3], off offset:4
	scratch_store_dwordx4 off, v[0:3], off offset:20
	;; [unrolled: 1-line block ×3, first 2 shown]
	scratch_store_dwordx3 off, v[12:14], off offset:52
	s_and_saveexec_b64 s[4:5], vcc
	s_cbranch_execz .LBB22_13
; %bb.3:
	v_lshlrev_b32_e32 v5, 8, v93
	v_or_b32_e32 v0, s22, v93
	v_cmp_le_i32_e32 vcc, s18, v0
	v_lshl_add_u32 v4, v92, 2, v5
	s_and_saveexec_b64 s[6:7], vcc
	s_xor_b64 s[6:7], exec, s[6:7]
	s_cbranch_execz .LBB22_7
; %bb.4:
	v_mov_b32_e32 v0, 0
	v_cmp_gt_u32_e32 vcc, 4, v92
	ds_write_b32 v4, v0
	s_and_saveexec_b64 s[8:9], vcc
	s_cbranch_execz .LBB22_6
; %bb.5:
	v_lshl_add_u32 v2, v92, 2, v4
	v_mov_b32_e32 v1, v0
	ds_write_b64 v2, v[0:1] offset:128
.LBB22_6:
	s_or_b64 exec, exec, s[8:9]
                                        ; implicit-def: $vgpr4
                                        ; implicit-def: $vgpr5
.LBB22_7:
	s_andn2_saveexec_b64 s[6:7], s[6:7]
	s_cbranch_execz .LBB22_13
; %bb.8:
	s_load_dwordx4 s[52:55], s[0:1], 0x70
	v_lshlrev_b32_e32 v2, 4, v92
	v_mov_b32_e32 v3, 0
	s_waitcnt lgkmcnt(0)
	s_mul_i32 s6, s33, s54
	s_mul_i32 s8, s22, s52
	;; [unrolled: 1-line block ×3, first 2 shown]
	s_add_i32 s6, s6, s8
	s_add_i32 s6, s6, s7
	s_ashr_i32 s7, s6, 31
	v_mul_lo_u32 v0, v93, s52
	s_add_u32 s6, s36, s6
	v_ashrrev_i32_e32 v1, 31, v0
	s_addc_u32 s7, s37, s7
	v_lshl_add_u64 v[0:1], s[6:7], 0, v[0:1]
	v_lshl_add_u64 v[0:1], v[0:1], 0, v[2:3]
	global_load_dwordx4 v[14:17], v[0:1], off
	v_mbcnt_lo_u32_b32 v0, -1, 0
	v_mbcnt_hi_u32_b32 v2, -1, v0
	v_and_b32_e32 v0, 0x60, v2
	v_xor_b32_e32 v1, 4, v2
	v_add_u32_e32 v10, 32, v0
	v_xor_b32_e32 v6, 2, v2
	v_cmp_lt_i32_e32 vcc, v1, v10
	v_xor_b32_e32 v7, 1, v2
	s_mov_b32 s8, 0x42fe0000
	v_cndmask_b32_e32 v0, v2, v1, vcc
	v_cmp_lt_i32_e32 vcc, v6, v10
	s_waitcnt vmcnt(0)
	v_mul_f32_e32 v9, s12, v14
	v_cndmask_b32_e32 v1, v2, v6, vcc
	v_mov_b32_e32 v14, v17
	v_lshlrev_b32_e32 v6, 2, v0
	v_lshlrev_b32_e32 v11, 2, v1
	v_pk_mul_f32 v[0:1], v[14:15], s[12:13] op_sel_hi:[1,0]
	v_max_f32_e64 v13, |v9|, |v9|
	v_mul_f32_e32 v8, s12, v16
	v_max_f32_e64 v13, v13, |v1|
	v_max3_f32 v13, v13, |v8|, |v0|
	ds_bpermute_b32 v14, v6, v13
	v_add_f32_e32 v15, v1, v9
	v_fmac_f32_e32 v15, s12, v16
	v_add_f32_e32 v15, v0, v15
	ds_bpermute_b32 v6, v6, v15
	s_waitcnt lgkmcnt(1)
	v_max_f32_e32 v14, v14, v14
	v_max_f32_e32 v13, v13, v14
	ds_bpermute_b32 v14, v11, v13
	v_cmp_lt_i32_e32 vcc, v7, v10
	s_waitcnt lgkmcnt(1)
	v_add_f32_e32 v6, v15, v6
	s_waitcnt lgkmcnt(0)
	v_max_f32_e32 v10, v14, v14
	v_cndmask_b32_e32 v2, v2, v7, vcc
	v_lshlrev_b32_e32 v2, 2, v2
	v_max_f32_e32 v10, v13, v10
	ds_bpermute_b32 v7, v11, v6
	ds_bpermute_b32 v11, v2, v10
	s_waitcnt lgkmcnt(1)
	v_add_f32_e32 v6, v6, v7
	s_waitcnt lgkmcnt(0)
	v_max_f32_e32 v7, v11, v11
	v_max_f32_e32 v10, v10, v7
	v_div_scale_f32 v11, s[6:7], s8, s8, v10
	v_rcp_f32_e32 v13, v11
	ds_bpermute_b32 v7, v2, v6
	v_div_scale_f32 v2, vcc, v10, s8, v10
	v_fma_f32 v14, -v11, v13, 1.0
	v_fmac_f32_e32 v13, v14, v13
	v_mul_f32_e32 v14, v2, v13
	v_fma_f32 v15, -v11, v14, v2
	v_fmac_f32_e32 v14, v15, v13
	v_fma_f32 v2, -v11, v14, v2
	v_div_fmas_f32 v2, v2, v13, v14
	v_div_fixup_f32 v2, v2, s8, v10
	v_cmp_neq_f32_e32 vcc, 0, v2
	s_and_saveexec_b64 s[6:7], vcc
	s_cbranch_execz .LBB22_10
; %bb.9:
	v_div_scale_f32 v3, s[8:9], v2, v2, v9
	v_rcp_f32_e32 v10, v3
	v_div_scale_f32 v11, vcc, v9, v2, v9
	s_brev_b32 s12, -2
	v_fma_f32 v13, -v3, v10, 1.0
	v_fmac_f32_e32 v10, v13, v10
	v_mul_f32_e32 v13, v11, v10
	v_fma_f32 v14, -v3, v13, v11
	v_fmac_f32_e32 v13, v14, v10
	v_fma_f32 v3, -v3, v13, v11
	v_div_fmas_f32 v3, v3, v10, v13
	v_div_fixup_f32 v3, v3, v2, v9
	v_trunc_f32_e32 v9, v3
	v_sub_f32_e32 v10, v3, v9
	v_cmp_ge_f32_e64 s[8:9], |v10|, 0.5
	s_nop 1
	v_cndmask_b32_e64 v10, 0, 1.0, s[8:9]
	v_div_scale_f32 v11, s[8:9], v2, v2, v0
	v_rcp_f32_e32 v13, v11
	v_bfi_b32 v3, s12, v10, v3
	v_add_f32_e32 v3, v9, v3
	v_cvt_i32_f32_e32 v3, v3
	v_fma_f32 v9, -v11, v13, 1.0
	v_fmac_f32_e32 v13, v9, v13
	v_div_scale_f32 v9, vcc, v0, v2, v0
	v_mul_f32_e32 v10, v9, v13
	v_fma_f32 v14, -v11, v10, v9
	v_fmac_f32_e32 v10, v14, v13
	v_div_scale_f32 v14, s[8:9], v2, v2, v1
	v_rcp_f32_e32 v15, v14
	v_fma_f32 v9, -v11, v10, v9
	v_div_fmas_f32 v9, v9, v13, v10
	v_div_fixup_f32 v0, v9, v2, v0
	v_fma_f32 v10, -v14, v15, 1.0
	v_fmac_f32_e32 v15, v10, v15
	v_div_scale_f32 v10, vcc, v1, v2, v1
	v_mul_f32_e32 v11, v10, v15
	v_fma_f32 v13, -v14, v11, v10
	v_fmac_f32_e32 v11, v13, v15
	v_div_scale_f32 v13, s[8:9], v2, v2, v8
	v_rcp_f32_e32 v16, v13
	v_fma_f32 v10, -v14, v11, v10
	v_div_fmas_f32 v10, v10, v15, v11
	v_div_fixup_f32 v1, v10, v2, v1
	v_fma_f32 v11, -v13, v16, 1.0
	v_fmac_f32_e32 v16, v11, v16
	v_div_scale_f32 v11, vcc, v8, v2, v8
	v_mul_f32_e32 v14, v11, v16
	v_fma_f32 v15, -v13, v14, v11
	v_fmac_f32_e32 v14, v15, v16
	v_fma_f32 v11, -v13, v14, v11
	v_div_fmas_f32 v11, v11, v16, v14
	v_div_fixup_f32 v8, v11, v2, v8
	v_trunc_f32_e32 v11, v8
	v_sub_f32_e32 v13, v8, v11
	v_trunc_f32_e32 v9, v1
	v_cmp_ge_f32_e64 s[8:9], |v13|, 0.5
	v_sub_f32_e32 v10, v1, v9
	v_and_b32_e32 v3, 0xff, v3
	v_cndmask_b32_e64 v13, 0, 1.0, s[8:9]
	v_cmp_ge_f32_e64 s[8:9], |v10|, 0.5
	v_bfi_b32 v8, s12, v13, v8
	v_add_f32_e32 v8, v11, v8
	v_cndmask_b32_e64 v10, 0, 1.0, s[8:9]
	v_bfi_b32 v1, s12, v10, v1
	v_add_f32_e32 v1, v9, v1
	v_trunc_f32_e32 v9, v0
	v_sub_f32_e32 v10, v0, v9
	v_cmp_ge_f32_e64 s[8:9], |v10|, 0.5
	v_cvt_i32_f32_e32 v8, v8
	v_cvt_i32_f32_e32 v1, v1
	v_cndmask_b32_e64 v10, 0, 1.0, s[8:9]
	v_bfi_b32 v0, s12, v10, v0
	v_add_f32_e32 v0, v9, v0
	v_cvt_i32_f32_e32 v0, v0
	v_and_b32_e32 v8, 0xff, v8
	v_lshlrev_b32_e32 v8, 16, v8
	v_mov_b32_e32 v9, 8
	v_lshlrev_b32_sdwa v1, v9, v1 dst_sel:DWORD dst_unused:UNUSED_PAD src0_sel:DWORD src1_sel:BYTE_0
	v_lshl_or_b32 v0, v0, 24, v8
	v_or3_b32 v3, v0, v1, v3
.LBB22_10:
	s_or_b64 exec, exec, s[6:7]
	v_and_b32_e32 v0, 7, v92
	v_cmp_eq_u32_e32 vcc, 0, v0
	ds_write_b32 v4, v3
	s_and_saveexec_b64 s[6:7], vcc
	s_cbranch_execz .LBB22_12
; %bb.11:
	s_waitcnt lgkmcnt(1)
	v_add_f32_e32 v3, v6, v7
	v_add_u32_e32 v0, v5, v92
	ds_write_b64 v0, v[2:3] offset:128
.LBB22_12:
	s_or_b64 exec, exec, s[6:7]
.LBB22_13:
	s_or_b64 exec, exec, s[4:5]
	v_and_b32_e32 v16, 3, v92
	v_lshlrev_b32_e32 v17, 2, v16
	s_waitcnt lgkmcnt(0)
	s_barrier
	ds_read2_b32 v[36:37], v17 offset1:4
	ds_read2_b32 v[38:39], v17 offset0:8 offset1:12
	ds_read_b128 v[0:3], v12 offset:128
	ds_read_b128 v[4:7], v12 offset:144
	ds_read2_b32 v[40:41], v17 offset0:16 offset1:20
	ds_read2_b32 v[42:43], v17 offset0:24 offset1:28
	;; [unrolled: 1-line block ×5, first 2 shown]
	ds_read_b128 v[8:11], v12 offset:384
	ds_read_b128 v[12:15], v12 offset:400
	ds_read2_b32 v[50:51], v17 offset0:88 offset1:92
	s_cmp_eq_u64 s[46:47], 0
	s_mov_b32 s21, s56
	s_waitcnt lgkmcnt(0)
	s_barrier
	s_cbranch_scc1 .LBB22_15
; %bb.14:
	s_load_dword s4, s[0:1], 0xd0
	s_mov_b32 s5, 0
	s_waitcnt lgkmcnt(0)
	s_mul_i32 s4, s4, s33
	s_add_i32 s4, s4, s2
	s_lshl_b64 s[4:5], s[4:5], 2
	s_add_u32 s4, s46, s4
	s_addc_u32 s5, s47, s5
	s_load_dword s21, s[4:5], 0x0
.LBB22_15:
	v_lshlrev_b32_e32 v99, 5, v93
	s_mov_b32 s4, 0xfeffffff
	v_add_u32_e32 v94, v99, v92
	s_lshl_b32 s24, s3, 7
	s_mov_b32 s5, s4
	v_mov_b32_e32 v33, 0
	s_mov_b32 s27, 0
	s_waitcnt lgkmcnt(0)
	s_cmp_ge_i32 s24, s21
	v_mov_b64_e32 v[34:35], s[4:5]
	v_lshlrev_b32_e32 v96, 2, v92
	v_mbcnt_lo_u32_b32 v98, -1, 0
	v_lshlrev_b32_e32 v95, 1, v94
	v_mov_b32_e32 v32, v33
	s_cbranch_scc1 .LBB22_66
; %bb.16:
	s_sub_i32 s2, 0, s25
	s_load_dwordx2 s[64:65], s[0:1], 0x8c
	s_load_dwordx4 s[12:15], s[0:1], 0x98
	s_sub_i32 s4, 0, s10
	s_mul_i32 s2, s2, s29
	s_mul_i32 s4, s4, s28
	s_mul_hi_u32 s2, s29, s2
	s_mul_hi_u32 s4, s28, s4
	s_abs_i32 s5, s20
	s_add_i32 s29, s29, s2
	s_add_i32 s28, s28, s4
	s_mul_hi_u32 s4, s5, s29
	s_ashr_i32 s8, s20, 31
	s_ashr_i32 s9, s26, 31
	;; [unrolled: 1-line block ×3, first 2 shown]
	s_waitcnt lgkmcnt(0)
	s_mul_i32 s13, s33, s13
	s_mul_i32 s26, s66, s12
	s_xor_b32 s8, s8, s9
	s_mul_i32 s9, s4, s25
	s_mul_hi_u32 s2, s33, s12
	s_add_i32 s67, s13, s26
	s_sub_i32 s5, s5, s9
	s_abs_i32 s6, s33
	s_add_i32 s2, s67, s2
	s_add_i32 s9, s4, 1
	s_sub_i32 s26, s5, s25
	s_cmp_ge_u32 s5, s25
	s_cselect_b32 s4, s9, s4
	s_cselect_b32 s5, s26, s5
	s_add_i32 s9, s4, 1
	s_cmp_ge_u32 s5, s25
	s_cselect_b32 s4, s9, s4
	s_mul_hi_u32 s7, s6, s28
	s_xor_b32 s4, s4, s8
	s_sub_i32 s4, s4, s8
	s_mul_i32 s7, s7, s10
	s_mul_i32 s60, s4, s65
	;; [unrolled: 1-line block ×3, first 2 shown]
	s_sub_i32 s4, s6, s7
	s_ashr_i32 s61, s60, 31
	s_ashr_i32 s59, s58, 31
	s_sub_i32 s5, s4, s10
	s_cmp_ge_u32 s4, s10
	s_cselect_b32 s4, s5, s4
	s_sub_i32 s5, s4, s10
	s_cmp_ge_u32 s4, s10
	s_cselect_b32 s6, s5, s4
	s_load_dwordx2 s[62:63], s[0:1], 0xa8
	s_load_dwordx2 s[4:5], s[0:1], 0xc8
	s_xor_b32 s6, s6, s66
	s_sub_i32 s6, s6, s66
	s_load_dword s8, s[0:1], 0xd4
	s_ashr_i32 s7, s6, 31
	s_waitcnt lgkmcnt(0)
	s_mul_i32 s5, s6, s5
	s_mul_hi_u32 s9, s6, s4
	v_and_b32_e32 v17, 0x7c, v92
	s_add_i32 s5, s9, s5
	s_mul_i32 s7, s7, s4
	s_mul_i32 s28, s22, s11
	v_add_u32_e32 v18, v99, v17
	v_mbcnt_hi_u32_b32 v17, -1, v98
	s_add_i32 s15, s5, s7
	s_ashr_i32 s29, s28, 31
	v_and_b32_e32 v19, 0x7c, v17
	v_add_u32_e32 v19, 4, v19
	v_xor_b32_e32 v20, 2, v17
	s_cmp_lg_u64 s[42:43], 0
	s_mul_i32 s72, s6, s4
	v_cmp_lt_i32_e32 vcc, v20, v19
	s_cselect_b64 s[6:7], -1, 0
	s_lshl_b32 s34, s8, 7
	v_cndmask_b32_e32 v20, v17, v20, vcc
	s_cmp_lt_i32 s22, s18
	v_lshlrev_b32_e32 v100, 2, v20
	v_xor_b32_e32 v20, 1, v17
	s_cselect_b64 s[8:9], -1, 0
	v_cmp_lt_i32_e32 vcc, v20, v19
	s_and_b64 s[52:53], s[6:7], s[8:9]
	s_or_b32 s8, s22, 1
	v_cndmask_b32_e32 v19, v17, v20, vcc
	s_cmp_lt_i32 s8, s18
	v_lshlrev_b32_e32 v101, 2, v19
	v_and_b32_e32 v19, 0x60, v17
	s_cselect_b64 s[8:9], -1, 0
	v_add_u32_e32 v19, 32, v19
	v_cmp_eq_u32_e64 s[4:5], 0, v16
	s_and_b64 s[54:55], s[6:7], s[8:9]
	v_cmp_eq_u32_e64 s[6:7], 1, v16
	v_cmp_eq_u32_e64 s[8:9], 2, v16
	;; [unrolled: 1-line block ×3, first 2 shown]
	v_xor_b32_e32 v16, 4, v17
	v_cmp_lt_i32_e32 vcc, v16, v19
	v_mul_lo_u32 v20, v18, s64
	v_add_u32_e32 v24, s64, v20
	v_cndmask_b32_e32 v16, v17, v16, vcc
	v_lshlrev_b32_e32 v102, 2, v16
	v_xor_b32_e32 v16, 8, v17
	v_cmp_lt_i32_e32 vcc, v16, v19
	v_lshrrev_b32_e32 v30, 3, v92
	v_add_u32_e32 v26, s64, v24
	v_cndmask_b32_e32 v16, v17, v16, vcc
	v_lshlrev_b32_e32 v103, 2, v16
	v_xor_b32_e32 v16, 16, v17
	v_cmp_lt_i32_e32 vcc, v16, v19
	s_ashr_i32 s57, s56, 31
	s_mov_b32 s25, s27
	v_cndmask_b32_e32 v16, v17, v16, vcc
	s_mul_i32 s30, s24, s64
	v_mov_b32_e32 v33, 0
	s_mul_i32 s36, s34, s64
	v_add_u32_e32 v28, s64, v26
	v_lshlrev_b32_e32 v104, 2, v16
	v_or_b32_e32 v16, v99, v30
	s_add_u32 s64, s38, s60
	v_lshlrev_b32_e32 v105, 1, v16
	v_add_u32_e32 v88, v99, v30
	v_mov_b32_e32 v16, 0x100
	v_mov_b32_e32 v19, v33
	s_addc_u32 s65, s39, s61
	s_lshl_b64 s[68:69], s[24:25], 1
	s_mul_i32 s13, s33, s12
	v_lshl_add_u32 v106, v88, 1, v16
	v_lshl_add_u64 v[16:17], v[18:19], 0, s[56:57]
	v_mov_b32_e32 v19, s12
	s_add_u32 s12, s42, s68
	v_and_b32_e32 v32, 12, v96
	s_addc_u32 s25, s43, s69
	s_mov_b32 s35, s27
	v_add_u32_e32 v22, s56, v18
	v_mad_u64_u32 v[30:31], s[56:57], s33, v19, v[32:33]
	s_add_u32 s70, s12, s72
	s_addc_u32 s71, s25, s15
	s_lshl_b64 s[56:57], s[34:35], 1
	s_add_u32 s12, s72, s68
	v_ashrrev_i32_e32 v25, 31, v24
	v_add_u32_e32 v31, s67, v31
	s_addc_u32 s15, s15, s69
	s_add_u32 s42, s42, s12
	v_lshl_add_u64 v[62:63], v[16:17], 1, s[70:71]
	v_lshl_add_u64 v[16:17], v[30:31], 0, v[24:25]
	v_lshlrev_b32_e32 v32, 1, v18
	s_addc_u32 s43, s43, s15
	v_lshl_add_u64 v[66:67], s[64:65], 0, v[16:17]
	v_and_b32_e32 v16, 7, v92
	v_lshl_add_u64 v[56:57], s[42:43], 0, v[32:33]
	s_add_u32 s42, s64, s13
	v_lshlrev_b32_e32 v32, 4, v16
	s_mul_i32 s12, s33, s63
	s_mul_i32 s66, s66, s62
	v_mov_b32_e32 v16, s62
	v_ashrrev_i32_e32 v23, 31, v22
	v_ashrrev_i32_e32 v27, 31, v26
	s_addc_u32 s43, s65, s2
	s_add_i32 s12, s12, s66
	v_mad_u64_u32 v[16:17], s[62:63], s33, v16, v[32:33]
	v_lshl_add_u64 v[54:55], v[22:23], 1, s[70:71]
	v_lshl_add_u64 v[18:19], v[30:31], 0, v[26:27]
	v_add_u32_e32 v17, s12, v17
	v_mul_lo_u32 v22, s14, v88
	v_lshl_add_u64 v[60:61], s[64:65], 0, v[18:19]
	v_lshl_add_u64 v[18:19], v[16:17], 0, s[58:59]
	v_ashrrev_i32_e32 v23, 31, v22
	s_add_u32 s12, s13, s60
	v_lshl_add_u64 v[18:19], v[18:19], 0, v[22:23]
	s_addc_u32 s2, s2, s61
	v_ashrrev_i32_e32 v21, 31, v20
	v_lshl_add_u64 v[68:69], s[40:41], 0, v[18:19]
	v_lshl_add_u64 v[18:19], v[30:31], 0, s[60:61]
	s_add_u32 s12, s38, s12
	v_lshl_add_u64 v[18:19], v[18:19], 0, v[20:21]
	s_addc_u32 s13, s39, s2
	v_lshl_add_u64 v[72:73], s[38:39], 0, v[18:19]
	v_lshl_add_u64 v[18:19], s[12:13], 0, v[20:21]
	;; [unrolled: 1-line block ×3, first 2 shown]
	v_add_u32_e32 v18, 4, v88
	v_mul_lo_u32 v18, s14, v18
	v_ashrrev_i32_e32 v19, 31, v18
	s_add_u32 s12, s40, s58
	v_lshl_add_u64 v[18:19], v[16:17], 0, v[18:19]
	s_addc_u32 s13, s41, s59
	v_lshl_add_u64 v[76:77], s[12:13], 0, v[18:19]
	v_add_u32_e32 v18, 28, v88
	v_mul_lo_u32 v18, s14, v18
	v_ashrrev_i32_e32 v19, 31, v18
	v_lshl_add_u64 v[18:19], v[16:17], 0, v[18:19]
	v_lshl_add_u64 v[78:79], s[12:13], 0, v[18:19]
	v_add_u32_e32 v18, 8, v88
	v_mul_lo_u32 v18, s14, v18
	v_ashrrev_i32_e32 v19, 31, v18
	v_lshl_add_u64 v[18:19], v[16:17], 0, v[18:19]
	;; [unrolled: 5-line block ×5, first 2 shown]
	v_lshl_add_u64 v[86:87], s[12:13], 0, v[18:19]
	v_add_u32_e32 v18, 20, v88
	v_mul_lo_u32 v18, s14, v18
	v_ashrrev_i32_e32 v29, 31, v28
	v_ashrrev_i32_e32 v19, 31, v18
	v_lshl_add_u64 v[34:35], v[30:31], 0, v[28:29]
	v_lshl_add_u64 v[16:17], v[16:17], 0, v[18:19]
	;; [unrolled: 1-line block ×4, first 2 shown]
	s_mov_b64 s[12:13], 0x80
	v_mov_b32_e32 v34, 0xfeffffff
	s_mul_i32 s26, s24, s14
	s_mov_b32 s31, s27
	s_mov_b32 s37, s27
	s_mul_i32 s46, s34, s14
	s_mov_b32 s47, s27
	v_lshl_add_u64 v[58:59], s[42:43], 0, v[28:29]
	v_lshl_add_u64 v[64:65], s[42:43], 0, v[26:27]
	;; [unrolled: 1-line block ×4, first 2 shown]
	s_mov_b32 s2, 0x3f200000
	s_mov_b32 s25, 0x3fb8aa3b
	;; [unrolled: 1-line block ×4, first 2 shown]
	v_mov_b32_e32 v107, 0x3ca908c9
	s_brev_b32 s41, -2
	v_mov_b32_e32 v108, 0x7f800000
	v_mov_b32_e32 v32, v33
	v_mov_b32_e32 v35, v34
                                        ; implicit-def: $vgpr16
                                        ; implicit-def: $vgpr16
	;; [unrolled: 1-line block ×3, first 2 shown]
                                        ; implicit-def: $vgpr90
	s_branch .LBB22_18
.LBB22_17:                              ;   in Loop: Header=BB22_18 Depth=1
	v_cndmask_b32_e64 v17, v90, v20, s[4:5]
	v_add_f32_e32 v19, 0x40051340, v20
	v_add_f32_e32 v20, 0x40051340, v22
	v_cndmask_b32_e64 v18, v91, v21, s[4:5]
	v_cndmask_b32_e64 v17, v17, v22, s[6:7]
	v_max3_f32 v19, v34, v19, v20
	v_add_f32_e32 v20, 0x40051340, v24
	v_add_f32_e32 v22, 0x40051340, v26
	v_cndmask_b32_e64 v18, v18, v23, s[6:7]
	v_max3_f32 v28, v19, v20, v22
	v_add_f32_e32 v19, 0x40051340, v21
	v_add_f32_e32 v20, 0x40051340, v23
	v_cndmask_b32_e64 v17, v17, v24, s[8:9]
	v_cndmask_b32_e64 v18, v18, v25, s[8:9]
	v_max3_f32 v19, v35, v19, v20
	v_add_f32_e32 v20, 0x40051340, v25
	v_add_f32_e32 v21, 0x40051340, v16
	v_max3_f32 v29, v19, v20, v21
	v_cndmask_b32_e64 v27, v18, v16, s[10:11]
	v_cndmask_b32_e64 v26, v17, v26, s[10:11]
	scratch_load_dwordx4 v[16:19], off, off
	scratch_load_dwordx4 v[20:23], off, off offset:16
	ds_bpermute_b32 v31, v102, v29
	ds_bpermute_b32 v30, v102, v28
	v_mov_b32_e32 v25, v35
	v_mov_b32_e32 v24, v34
	s_add_i32 s24, s24, s34
	s_waitcnt lgkmcnt(1)
	v_max_f32_e32 v31, v31, v31
	v_max_f32_e32 v29, v29, v31
	s_waitcnt lgkmcnt(0)
	v_max_f32_e32 v30, v30, v30
	v_max_f32_e32 v28, v28, v30
	ds_bpermute_b32 v31, v103, v29
	ds_bpermute_b32 v30, v103, v28
	v_lshl_add_u64 v[52:53], v[52:53], 0, s[36:37]
	v_lshl_add_u64 v[54:55], v[54:55], 0, s[56:57]
	;; [unrolled: 1-line block ×3, first 2 shown]
	s_waitcnt lgkmcnt(1)
	v_max_f32_e32 v31, v31, v31
	v_max_f32_e32 v29, v29, v31
	s_waitcnt lgkmcnt(0)
	v_max_f32_e32 v30, v30, v30
	v_max_f32_e32 v28, v28, v30
	ds_bpermute_b32 v31, v104, v29
	ds_bpermute_b32 v30, v104, v28
	v_lshl_add_u64 v[58:59], v[58:59], 0, s[36:37]
	v_lshl_add_u64 v[60:61], v[60:61], 0, s[36:37]
	;; [unrolled: 1-line block ×3, first 2 shown]
	s_waitcnt lgkmcnt(1)
	v_max_f32_e32 v31, v31, v31
	v_max_f32_e32 v35, v29, v31
	s_waitcnt lgkmcnt(0)
	v_max_f32_e32 v29, v30, v30
	v_max_f32_e32 v34, v28, v29
	v_pk_add_f32 v[26:27], v[26:27], v[34:35] neg_lo:[0,1] neg_hi:[0,1]
	v_pk_add_f32 v[24:25], v[24:25], v[34:35] neg_lo:[0,1] neg_hi:[0,1]
	v_mul_f32_e32 v28, 0x3fb8aa3b, v27
	v_fma_f32 v29, v27, s25, -v28
	v_rndne_f32_e32 v30, v28
	v_fmac_f32_e32 v29, 0x32a5705f, v27
	v_sub_f32_e32 v28, v28, v30
	v_add_f32_e32 v28, v28, v29
	v_exp_f32_e32 v28, v28
	v_cvt_i32_f32_e32 v29, v30
	v_cmp_ngt_f32_e32 vcc, s35, v27
	v_lshl_add_u64 v[30:31], v[68:69], 0, s[26:27]
	v_lshl_add_u64 v[64:65], v[64:65], 0, s[36:37]
	v_ldexp_f32 v28, v28, v29
	v_cndmask_b32_e32 v28, 0, v28, vcc
	v_cmp_nlt_f32_e32 vcc, s40, v27
	v_mul_f32_e32 v27, 0x3fb8aa3b, v26
	v_rndne_f32_e32 v29, v27
	v_cndmask_b32_e32 v91, v108, v28, vcc
	v_fma_f32 v28, v26, s25, -v27
	v_fmac_f32_e32 v28, 0x32a5705f, v26
	v_sub_f32_e32 v27, v27, v29
	v_add_f32_e32 v27, v27, v28
	v_exp_f32_e32 v27, v27
	v_cvt_i32_f32_e32 v28, v29
	v_cmp_ngt_f32_e32 vcc, s35, v26
	v_lshl_add_u64 v[66:67], v[66:67], 0, s[36:37]
	v_lshl_add_u64 v[68:69], v[68:69], 0, s[46:47]
	v_ldexp_f32 v27, v27, v28
	v_cndmask_b32_e32 v27, 0, v27, vcc
	v_cmp_nlt_f32_e32 vcc, s40, v26
	v_lshl_add_u64 v[70:71], v[70:71], 0, s[36:37]
	v_lshl_add_u64 v[72:73], v[72:73], 0, s[36:37]
	v_cndmask_b32_e32 v90, v108, v27, vcc
	v_cvt_f16_f32_e32 v26, v90
	v_cmp_ngt_f32_e32 vcc, s35, v25
	v_lshl_add_u64 v[74:75], v[74:75], 0, s[36:37]
	s_cmp_ge_i32 s24, s21
	ds_write_b16 v95, v26
	v_mul_f32_e32 v26, 0x3fb8aa3b, v25
	v_fma_f32 v27, v25, s25, -v26
	v_rndne_f32_e32 v28, v26
	v_fmac_f32_e32 v27, 0x32a5705f, v25
	v_sub_f32_e32 v26, v26, v28
	v_add_f32_e32 v26, v26, v27
	v_exp_f32_e32 v26, v26
	v_cvt_i32_f32_e32 v27, v28
	v_ldexp_f32 v26, v26, v27
	v_cndmask_b32_e32 v26, 0, v26, vcc
	v_cmp_nlt_f32_e32 vcc, s40, v25
	s_nop 1
	v_cndmask_b32_e32 v25, v108, v26, vcc
	v_mul_f32_e32 v26, 0x3fb8aa3b, v24
	v_fma_f32 v27, v24, s25, -v26
	v_rndne_f32_e32 v28, v26
	v_fmac_f32_e32 v27, 0x32a5705f, v24
	v_sub_f32_e32 v26, v26, v28
	v_add_f32_e32 v26, v26, v27
	v_exp_f32_e32 v26, v26
	v_cvt_i32_f32_e32 v27, v28
	v_cmp_ngt_f32_e32 vcc, s35, v24
	v_cvt_f16_f32_e32 v28, v25
	v_ldexp_f32 v26, v26, v27
	v_cndmask_b32_e32 v26, 0, v26, vcc
	v_cmp_nlt_f32_e32 vcc, s40, v24
	s_nop 1
	v_cndmask_b32_e32 v24, v108, v26, vcc
	v_cvt_f16_f32_e32 v26, v24
	v_pk_fma_f32 v[32:33], v[32:33], v[24:25], v[90:91]
	s_waitcnt vmcnt(1)
	v_pk_mul_f16 v109, v26, v16 op_sel_hi:[0,1]
	s_waitcnt vmcnt(0)
	v_pk_mul_f16 v16, v26, v20 op_sel_hi:[0,1]
	v_cvt_f16_f32_e32 v20, v91
	v_pk_mul_f16 v110, v26, v17 op_sel_hi:[0,1]
	v_pk_mul_f16 v111, v26, v18 op_sel_hi:[0,1]
	;; [unrolled: 1-line block ×6, first 2 shown]
	ds_write_b16 v95, v20 offset:256
	scratch_load_dwordx4 v[20:23], off, off offset:32
	scratch_load_dwordx4 v[24:27], off, off offset:48
	ds_read_u16 v114, v105 offset:256
	scratch_store_dwordx4 off, v[16:19], off offset:16
	s_waitcnt vmcnt(2)
	v_pk_mul_f16 v20, v28, v20 op_sel_hi:[0,1]
	s_waitcnt vmcnt(1)
	v_pk_mul_f16 v24, v28, v24 op_sel_hi:[0,1]
	v_pk_mul_f16 v25, v28, v25 op_sel_hi:[0,1]
	;; [unrolled: 1-line block ×7, first 2 shown]
	scratch_store_dwordx4 off, v[24:27], off offset:48
	global_load_dwordx4 v[26:29], v[30:31], off
	s_waitcnt vmcnt(0)
	v_lshlrev_b32_e32 v113, 16, v26
	v_and_b32_e32 v26, 0xffff0000, v26
	v_cvt_f16_f32_e32 v26, v26
	v_cvt_f16_f32_e32 v113, v113
	scratch_store_dwordx4 off, v[20:23], off offset:32
	ds_read_u16 v118, v105
	ds_read_u16 v119, v105 offset:8
	v_pack_b32_f16 v113, v113, v26
	v_lshlrev_b32_e32 v26, 16, v27
	v_and_b32_e32 v27, 0xffff0000, v27
	v_cvt_f16_f32_e32 v27, v27
	v_cvt_f16_f32_e32 v26, v26
	s_waitcnt lgkmcnt(2)
	v_pk_fma_f16 v20, v114, v113, v20 op_sel_hi:[0,1,1]
	v_pack_b32_f16 v115, v26, v27
	v_lshlrev_b32_e32 v26, 16, v28
	v_and_b32_e32 v27, 0xffff0000, v28
	v_cvt_f16_f32_e32 v27, v27
	v_cvt_f16_f32_e32 v26, v26
	v_pk_fma_f16 v21, v114, v115, v21 op_sel_hi:[0,1,1]
	v_pack_b32_f16 v116, v26, v27
	v_lshlrev_b32_e32 v26, 16, v29
	v_and_b32_e32 v27, 0xffff0000, v29
	v_cvt_f16_f32_e32 v27, v27
	v_cvt_f16_f32_e32 v26, v26
	s_waitcnt lgkmcnt(1)
	v_pk_fma_f16 v28, v118, v116, v111 op_sel_hi:[0,1,1]
	v_pk_fma_f16 v22, v114, v116, v22 op_sel_hi:[0,1,1]
	v_pack_b32_f16 v117, v26, v27
	v_pk_fma_f16 v26, v118, v113, v109 op_sel_hi:[0,1,1]
	v_pk_fma_f16 v27, v118, v115, v110 op_sel_hi:[0,1,1]
	;; [unrolled: 1-line block ×3, first 2 shown]
	global_load_dwordx4 v[110:113], v[30:31], off offset:128
	v_pk_fma_f16 v23, v114, v117, v23 op_sel_hi:[0,1,1]
	scratch_store_dwordx4 off, v[26:29], off
	scratch_store_dwordx4 off, v[20:23], off offset:32
	s_waitcnt vmcnt(2)
	v_lshlrev_b32_e32 v30, 16, v110
	v_and_b32_e32 v31, 0xffff0000, v110
	v_cvt_f16_f32_e32 v31, v31
	v_cvt_f16_f32_e32 v30, v30
	v_and_b32_e32 v109, 0xffff0000, v111
	v_cvt_f16_f32_e32 v109, v109
	v_and_b32_e32 v110, 0xffff0000, v112
	v_pack_b32_f16 v30, v30, v31
	v_lshlrev_b32_e32 v31, 16, v111
	v_cvt_f16_f32_e32 v31, v31
	v_cvt_f16_f32_e32 v110, v110
	v_and_b32_e32 v111, 0xffff0000, v113
	v_cvt_f16_f32_e32 v111, v111
	v_pack_b32_f16 v31, v31, v109
	v_lshlrev_b32_e32 v109, 16, v112
	v_cvt_f16_f32_e32 v109, v109
	v_pk_fma_f16 v16, v118, v30, v16 op_sel_hi:[0,1,1]
	v_pk_fma_f16 v17, v118, v31, v17 op_sel_hi:[0,1,1]
	v_pack_b32_f16 v109, v109, v110
	v_lshlrev_b32_e32 v110, 16, v113
	v_cvt_f16_f32_e32 v110, v110
	v_pk_fma_f16 v18, v118, v109, v18 op_sel_hi:[0,1,1]
	v_pack_b32_f16 v113, v110, v111
	v_pk_fma_f16 v110, v114, v30, v24 op_sel_hi:[0,1,1]
	v_pk_fma_f16 v111, v114, v31, v25 op_sel_hi:[0,1,1]
	scratch_load_dwordx2 v[24:25], off, off offset:56
	v_lshl_add_u64 v[30:31], v[76:77], 0, s[26:27]
	v_pk_fma_f16 v19, v118, v113, v19 op_sel_hi:[0,1,1]
	scratch_store_dwordx4 off, v[16:19], off offset:16
	v_lshl_add_u64 v[76:77], v[76:77], 0, s[46:47]
	s_waitcnt vmcnt(1)
	v_pk_fma_f16 v112, v114, v109, v24 op_sel_hi:[0,1,1]
	v_pk_fma_f16 v113, v114, v113, v25 op_sel_hi:[0,1,1]
	global_load_dwordx4 v[114:117], v[30:31], off
	ds_read_u16 v109, v106 offset:8
	scratch_store_dwordx4 off, v[110:113], off offset:48
	s_waitcnt vmcnt(1)
	v_lshlrev_b32_e32 v24, 16, v114
	v_and_b32_e32 v25, 0xffff0000, v114
	v_cvt_f16_f32_e32 v25, v25
	v_cvt_f16_f32_e32 v24, v24
	v_and_b32_e32 v114, 0xffff0000, v115
	v_cvt_f16_f32_e32 v114, v114
	v_pack_b32_f16 v25, v24, v25
	v_lshlrev_b32_e32 v24, 16, v115
	v_cvt_f16_f32_e32 v24, v24
	v_and_b32_e32 v115, 0xffff0000, v116
	v_cvt_f16_f32_e32 v115, v115
	s_waitcnt lgkmcnt(0)
	v_pk_fma_f16 v20, v109, v25, v20 op_sel_hi:[0,1,1]
	v_pack_b32_f16 v114, v24, v114
	v_lshlrev_b32_e32 v24, 16, v116
	v_cvt_f16_f32_e32 v24, v24
	v_and_b32_e32 v116, 0xffff0000, v117
	v_cvt_f16_f32_e32 v116, v116
	v_pk_fma_f16 v21, v109, v114, v21 op_sel_hi:[0,1,1]
	v_pack_b32_f16 v115, v24, v115
	v_lshlrev_b32_e32 v24, 16, v117
	v_cvt_f16_f32_e32 v24, v24
	v_pk_fma_f16 v22, v109, v115, v22 op_sel_hi:[0,1,1]
	v_pack_b32_f16 v116, v24, v116
	v_pk_fma_f16 v24, v119, v25, v26 op_sel_hi:[0,1,1]
	v_pk_fma_f16 v25, v119, v114, v27 op_sel_hi:[0,1,1]
	;; [unrolled: 1-line block ×4, first 2 shown]
	global_load_dwordx4 v[28:31], v[30:31], off offset:128
	v_pk_fma_f16 v23, v109, v116, v23 op_sel_hi:[0,1,1]
	scratch_store_dwordx4 off, v[24:27], off
	scratch_store_dwordx4 off, v[20:23], off offset:32
	s_waitcnt vmcnt(2)
	v_lshlrev_b32_e32 v114, 16, v28
	v_and_b32_e32 v28, 0xffff0000, v28
	v_cvt_f16_f32_e32 v28, v28
	v_cvt_f16_f32_e32 v114, v114
	v_pack_b32_f16 v28, v114, v28
	v_lshlrev_b32_e32 v114, 16, v29
	v_and_b32_e32 v29, 0xffff0000, v29
	v_cvt_f16_f32_e32 v29, v29
	v_cvt_f16_f32_e32 v114, v114
	v_pk_fma_f16 v16, v119, v28, v16 op_sel_hi:[0,1,1]
	v_pk_fma_f16 v28, v109, v28, v110 op_sel_hi:[0,1,1]
	v_pack_b32_f16 v29, v114, v29
	v_lshlrev_b32_e32 v114, 16, v30
	v_and_b32_e32 v30, 0xffff0000, v30
	v_cvt_f16_f32_e32 v30, v30
	v_cvt_f16_f32_e32 v114, v114
	v_pk_fma_f16 v17, v119, v29, v17 op_sel_hi:[0,1,1]
	v_pk_fma_f16 v29, v109, v29, v111 op_sel_hi:[0,1,1]
	;; [unrolled: 7-line block ×3, first 2 shown]
	v_pack_b32_f16 v31, v114, v31
	v_pk_fma_f16 v19, v119, v31, v19 op_sel_hi:[0,1,1]
	v_pk_fma_f16 v31, v109, v31, v113 op_sel_hi:[0,1,1]
	scratch_store_dwordx4 off, v[16:19], off offset:16
	scratch_store_dwordx4 off, v[28:31], off offset:48
	v_lshl_add_u64 v[114:115], v[80:81], 0, s[26:27]
	ds_read_u16 v109, v105 offset:16
	ds_read_u16 v116, v106 offset:16
	global_load_dwordx4 v[110:113], v[114:115], off
	v_lshl_add_u64 v[80:81], v[80:81], 0, s[46:47]
	s_waitcnt vmcnt(0)
	v_lshlrev_b32_e32 v117, 16, v110
	v_and_b32_e32 v110, 0xffff0000, v110
	v_cvt_f16_f32_e32 v110, v110
	v_cvt_f16_f32_e32 v117, v117
	v_pack_b32_f16 v110, v117, v110
	v_lshlrev_b32_e32 v117, 16, v111
	v_and_b32_e32 v111, 0xffff0000, v111
	v_cvt_f16_f32_e32 v111, v111
	v_cvt_f16_f32_e32 v117, v117
	s_waitcnt lgkmcnt(1)
	v_pk_fma_f16 v24, v109, v110, v24 op_sel_hi:[0,1,1]
	s_waitcnt lgkmcnt(0)
	v_pk_fma_f16 v20, v116, v110, v20 op_sel_hi:[0,1,1]
	v_pack_b32_f16 v111, v117, v111
	v_lshlrev_b32_e32 v117, 16, v112
	v_and_b32_e32 v112, 0xffff0000, v112
	v_cvt_f16_f32_e32 v112, v112
	v_cvt_f16_f32_e32 v117, v117
	v_pk_fma_f16 v25, v109, v111, v25 op_sel_hi:[0,1,1]
	v_pk_fma_f16 v21, v116, v111, v21 op_sel_hi:[0,1,1]
	v_pack_b32_f16 v112, v117, v112
	v_lshlrev_b32_e32 v117, 16, v113
	v_and_b32_e32 v113, 0xffff0000, v113
	v_cvt_f16_f32_e32 v113, v113
	v_cvt_f16_f32_e32 v117, v117
	v_pk_fma_f16 v26, v109, v112, v26 op_sel_hi:[0,1,1]
	v_pk_fma_f16 v22, v116, v112, v22 op_sel_hi:[0,1,1]
	v_pack_b32_f16 v113, v117, v113
	v_pk_fma_f16 v27, v109, v113, v27 op_sel_hi:[0,1,1]
	v_pk_fma_f16 v23, v116, v113, v23 op_sel_hi:[0,1,1]
	global_load_dwordx4 v[110:113], v[114:115], off offset:128
	s_waitcnt vmcnt(0)
	v_lshlrev_b32_e32 v114, 16, v110
	v_and_b32_e32 v110, 0xffff0000, v110
	v_cvt_f16_f32_e32 v110, v110
	v_cvt_f16_f32_e32 v114, v114
	scratch_store_dwordx4 off, v[24:27], off
	scratch_store_dwordx4 off, v[20:23], off offset:32
	v_pack_b32_f16 v110, v114, v110
	v_lshlrev_b32_e32 v114, 16, v111
	v_and_b32_e32 v111, 0xffff0000, v111
	v_cvt_f16_f32_e32 v111, v111
	v_cvt_f16_f32_e32 v114, v114
	v_pk_fma_f16 v16, v109, v110, v16 op_sel_hi:[0,1,1]
	v_pk_fma_f16 v28, v116, v110, v28 op_sel_hi:[0,1,1]
	v_pack_b32_f16 v111, v114, v111
	v_lshlrev_b32_e32 v114, 16, v112
	v_and_b32_e32 v112, 0xffff0000, v112
	v_cvt_f16_f32_e32 v112, v112
	v_cvt_f16_f32_e32 v114, v114
	v_pk_fma_f16 v17, v109, v111, v17 op_sel_hi:[0,1,1]
	v_pk_fma_f16 v29, v116, v111, v29 op_sel_hi:[0,1,1]
	;; [unrolled: 7-line block ×3, first 2 shown]
	v_pack_b32_f16 v113, v114, v113
	v_pk_fma_f16 v19, v109, v113, v19 op_sel_hi:[0,1,1]
	v_pk_fma_f16 v31, v116, v113, v31 op_sel_hi:[0,1,1]
	scratch_store_dwordx4 off, v[16:19], off offset:16
	scratch_store_dwordx4 off, v[28:31], off offset:48
	v_lshl_add_u64 v[114:115], v[82:83], 0, s[26:27]
	ds_read_u16 v109, v105 offset:24
	ds_read_u16 v116, v106 offset:24
	global_load_dwordx4 v[110:113], v[114:115], off
	v_lshl_add_u64 v[82:83], v[82:83], 0, s[46:47]
	s_waitcnt vmcnt(0)
	v_lshlrev_b32_e32 v117, 16, v110
	v_and_b32_e32 v110, 0xffff0000, v110
	v_cvt_f16_f32_e32 v110, v110
	v_cvt_f16_f32_e32 v117, v117
	v_pack_b32_f16 v110, v117, v110
	v_lshlrev_b32_e32 v117, 16, v111
	v_and_b32_e32 v111, 0xffff0000, v111
	v_cvt_f16_f32_e32 v111, v111
	v_cvt_f16_f32_e32 v117, v117
	s_waitcnt lgkmcnt(1)
	v_pk_fma_f16 v24, v109, v110, v24 op_sel_hi:[0,1,1]
	s_waitcnt lgkmcnt(0)
	v_pk_fma_f16 v20, v116, v110, v20 op_sel_hi:[0,1,1]
	v_pack_b32_f16 v111, v117, v111
	v_lshlrev_b32_e32 v117, 16, v112
	v_and_b32_e32 v112, 0xffff0000, v112
	v_cvt_f16_f32_e32 v112, v112
	v_cvt_f16_f32_e32 v117, v117
	v_pk_fma_f16 v25, v109, v111, v25 op_sel_hi:[0,1,1]
	v_pk_fma_f16 v21, v116, v111, v21 op_sel_hi:[0,1,1]
	v_pack_b32_f16 v112, v117, v112
	v_lshlrev_b32_e32 v117, 16, v113
	v_and_b32_e32 v113, 0xffff0000, v113
	v_cvt_f16_f32_e32 v113, v113
	v_cvt_f16_f32_e32 v117, v117
	v_pk_fma_f16 v26, v109, v112, v26 op_sel_hi:[0,1,1]
	v_pk_fma_f16 v22, v116, v112, v22 op_sel_hi:[0,1,1]
	v_pack_b32_f16 v113, v117, v113
	v_pk_fma_f16 v27, v109, v113, v27 op_sel_hi:[0,1,1]
	v_pk_fma_f16 v23, v116, v113, v23 op_sel_hi:[0,1,1]
	global_load_dwordx4 v[110:113], v[114:115], off offset:128
	s_waitcnt vmcnt(0)
	v_lshlrev_b32_e32 v114, 16, v110
	v_and_b32_e32 v110, 0xffff0000, v110
	v_cvt_f16_f32_e32 v110, v110
	v_cvt_f16_f32_e32 v114, v114
	scratch_store_dwordx4 off, v[24:27], off
	scratch_store_dwordx4 off, v[20:23], off offset:32
	v_pack_b32_f16 v110, v114, v110
	v_lshlrev_b32_e32 v114, 16, v111
	v_and_b32_e32 v111, 0xffff0000, v111
	v_cvt_f16_f32_e32 v111, v111
	v_cvt_f16_f32_e32 v114, v114
	v_pk_fma_f16 v16, v109, v110, v16 op_sel_hi:[0,1,1]
	v_pk_fma_f16 v28, v116, v110, v28 op_sel_hi:[0,1,1]
	v_pack_b32_f16 v111, v114, v111
	v_lshlrev_b32_e32 v114, 16, v112
	v_and_b32_e32 v112, 0xffff0000, v112
	v_cvt_f16_f32_e32 v112, v112
	v_cvt_f16_f32_e32 v114, v114
	v_pk_fma_f16 v17, v109, v111, v17 op_sel_hi:[0,1,1]
	v_pk_fma_f16 v29, v116, v111, v29 op_sel_hi:[0,1,1]
	;; [unrolled: 7-line block ×3, first 2 shown]
	v_pack_b32_f16 v113, v114, v113
	v_pk_fma_f16 v19, v109, v113, v19 op_sel_hi:[0,1,1]
	v_pk_fma_f16 v31, v116, v113, v31 op_sel_hi:[0,1,1]
	scratch_store_dwordx4 off, v[16:19], off offset:16
	scratch_store_dwordx4 off, v[28:31], off offset:48
	v_lshl_add_u64 v[114:115], v[86:87], 0, s[26:27]
	ds_read_u16 v109, v105 offset:32
	ds_read_u16 v116, v105 offset:288
	global_load_dwordx4 v[110:113], v[114:115], off
	v_lshl_add_u64 v[86:87], v[86:87], 0, s[46:47]
	s_waitcnt vmcnt(0)
	v_lshlrev_b32_e32 v117, 16, v110
	v_and_b32_e32 v110, 0xffff0000, v110
	v_cvt_f16_f32_e32 v110, v110
	v_cvt_f16_f32_e32 v117, v117
	v_pack_b32_f16 v110, v117, v110
	v_lshlrev_b32_e32 v117, 16, v111
	v_and_b32_e32 v111, 0xffff0000, v111
	v_cvt_f16_f32_e32 v111, v111
	v_cvt_f16_f32_e32 v117, v117
	s_waitcnt lgkmcnt(1)
	v_pk_fma_f16 v24, v109, v110, v24 op_sel_hi:[0,1,1]
	s_waitcnt lgkmcnt(0)
	v_pk_fma_f16 v20, v116, v110, v20 op_sel_hi:[0,1,1]
	v_pack_b32_f16 v111, v117, v111
	v_lshlrev_b32_e32 v117, 16, v112
	v_and_b32_e32 v112, 0xffff0000, v112
	v_cvt_f16_f32_e32 v112, v112
	v_cvt_f16_f32_e32 v117, v117
	v_pk_fma_f16 v25, v109, v111, v25 op_sel_hi:[0,1,1]
	v_pk_fma_f16 v21, v116, v111, v21 op_sel_hi:[0,1,1]
	v_pack_b32_f16 v112, v117, v112
	v_lshlrev_b32_e32 v117, 16, v113
	v_and_b32_e32 v113, 0xffff0000, v113
	v_cvt_f16_f32_e32 v113, v113
	v_cvt_f16_f32_e32 v117, v117
	v_pk_fma_f16 v26, v109, v112, v26 op_sel_hi:[0,1,1]
	v_pk_fma_f16 v22, v116, v112, v22 op_sel_hi:[0,1,1]
	v_pack_b32_f16 v113, v117, v113
	v_pk_fma_f16 v27, v109, v113, v27 op_sel_hi:[0,1,1]
	v_pk_fma_f16 v23, v116, v113, v23 op_sel_hi:[0,1,1]
	global_load_dwordx4 v[110:113], v[114:115], off offset:128
	s_waitcnt vmcnt(0)
	v_lshlrev_b32_e32 v114, 16, v110
	v_and_b32_e32 v110, 0xffff0000, v110
	v_cvt_f16_f32_e32 v110, v110
	v_cvt_f16_f32_e32 v114, v114
	scratch_store_dwordx4 off, v[24:27], off
	scratch_store_dwordx4 off, v[20:23], off offset:32
	v_pack_b32_f16 v110, v114, v110
	v_lshlrev_b32_e32 v114, 16, v111
	v_and_b32_e32 v111, 0xffff0000, v111
	v_cvt_f16_f32_e32 v111, v111
	v_cvt_f16_f32_e32 v114, v114
	v_pk_fma_f16 v16, v109, v110, v16 op_sel_hi:[0,1,1]
	v_pk_fma_f16 v28, v116, v110, v28 op_sel_hi:[0,1,1]
	v_pack_b32_f16 v111, v114, v111
	v_lshlrev_b32_e32 v114, 16, v112
	v_and_b32_e32 v112, 0xffff0000, v112
	v_cvt_f16_f32_e32 v112, v112
	v_cvt_f16_f32_e32 v114, v114
	v_pk_fma_f16 v17, v109, v111, v17 op_sel_hi:[0,1,1]
	v_pk_fma_f16 v29, v116, v111, v29 op_sel_hi:[0,1,1]
	;; [unrolled: 7-line block ×3, first 2 shown]
	v_pack_b32_f16 v113, v114, v113
	v_pk_fma_f16 v19, v109, v113, v19 op_sel_hi:[0,1,1]
	v_pk_fma_f16 v31, v116, v113, v31 op_sel_hi:[0,1,1]
	scratch_store_dwordx4 off, v[16:19], off offset:16
	scratch_store_dwordx4 off, v[28:31], off offset:48
	v_lshl_add_u64 v[114:115], v[88:89], 0, s[26:27]
	ds_read_u16 v109, v105 offset:40
	ds_read_u16 v116, v106 offset:40
	global_load_dwordx4 v[110:113], v[114:115], off offset:-128
	v_lshl_add_u64 v[88:89], v[88:89], 0, s[46:47]
	s_waitcnt vmcnt(0)
	v_lshlrev_b32_e32 v117, 16, v110
	v_and_b32_e32 v110, 0xffff0000, v110
	v_cvt_f16_f32_e32 v110, v110
	v_cvt_f16_f32_e32 v117, v117
	v_pack_b32_f16 v110, v117, v110
	v_lshlrev_b32_e32 v117, 16, v111
	v_and_b32_e32 v111, 0xffff0000, v111
	v_cvt_f16_f32_e32 v111, v111
	v_cvt_f16_f32_e32 v117, v117
	s_waitcnt lgkmcnt(1)
	v_pk_fma_f16 v24, v109, v110, v24 op_sel_hi:[0,1,1]
	s_waitcnt lgkmcnt(0)
	v_pk_fma_f16 v20, v116, v110, v20 op_sel_hi:[0,1,1]
	v_pack_b32_f16 v111, v117, v111
	v_lshlrev_b32_e32 v117, 16, v112
	v_and_b32_e32 v112, 0xffff0000, v112
	v_cvt_f16_f32_e32 v112, v112
	v_cvt_f16_f32_e32 v117, v117
	v_pk_fma_f16 v25, v109, v111, v25 op_sel_hi:[0,1,1]
	v_pk_fma_f16 v21, v116, v111, v21 op_sel_hi:[0,1,1]
	v_pack_b32_f16 v112, v117, v112
	v_lshlrev_b32_e32 v117, 16, v113
	v_and_b32_e32 v113, 0xffff0000, v113
	v_cvt_f16_f32_e32 v113, v113
	v_cvt_f16_f32_e32 v117, v117
	v_pk_fma_f16 v26, v109, v112, v26 op_sel_hi:[0,1,1]
	v_pk_fma_f16 v22, v116, v112, v22 op_sel_hi:[0,1,1]
	v_pack_b32_f16 v113, v117, v113
	v_pk_fma_f16 v27, v109, v113, v27 op_sel_hi:[0,1,1]
	v_pk_fma_f16 v23, v116, v113, v23 op_sel_hi:[0,1,1]
	global_load_dwordx4 v[110:113], v[114:115], off
	s_waitcnt vmcnt(0)
	v_lshlrev_b32_e32 v114, 16, v110
	v_and_b32_e32 v110, 0xffff0000, v110
	v_cvt_f16_f32_e32 v110, v110
	v_cvt_f16_f32_e32 v114, v114
	scratch_store_dwordx4 off, v[24:27], off
	scratch_store_dwordx4 off, v[20:23], off offset:32
	v_pack_b32_f16 v110, v114, v110
	v_lshlrev_b32_e32 v114, 16, v111
	v_and_b32_e32 v111, 0xffff0000, v111
	v_cvt_f16_f32_e32 v111, v111
	v_cvt_f16_f32_e32 v114, v114
	v_pk_fma_f16 v16, v109, v110, v16 op_sel_hi:[0,1,1]
	v_pk_fma_f16 v110, v116, v110, v28 op_sel_hi:[0,1,1]
	v_pack_b32_f16 v111, v114, v111
	v_lshlrev_b32_e32 v114, 16, v112
	v_and_b32_e32 v112, 0xffff0000, v112
	v_cvt_f16_f32_e32 v112, v112
	v_cvt_f16_f32_e32 v114, v114
	v_pk_fma_f16 v17, v109, v111, v17 op_sel_hi:[0,1,1]
	v_pk_fma_f16 v111, v116, v111, v29 op_sel_hi:[0,1,1]
	;; [unrolled: 7-line block ×3, first 2 shown]
	v_pack_b32_f16 v113, v114, v113
	v_pk_fma_f16 v19, v109, v113, v19 op_sel_hi:[0,1,1]
	v_pk_fma_f16 v113, v116, v113, v31 op_sel_hi:[0,1,1]
	scratch_store_dwordx4 off, v[16:19], off offset:16
	scratch_store_dwordx4 off, v[110:113], off offset:48
	v_lshl_add_u64 v[114:115], v[84:85], 0, s[26:27]
	ds_read_u16 v109, v105 offset:48
	ds_read_u16 v116, v106 offset:48
	global_load_dwordx4 v[28:31], v[114:115], off
	v_lshl_add_u64 v[84:85], v[84:85], 0, s[46:47]
	s_waitcnt vmcnt(0)
	v_lshlrev_b32_e32 v117, 16, v28
	v_and_b32_e32 v28, 0xffff0000, v28
	v_cvt_f16_f32_e32 v28, v28
	v_cvt_f16_f32_e32 v117, v117
	v_pack_b32_f16 v117, v117, v28
	v_lshlrev_b32_e32 v28, 16, v29
	v_and_b32_e32 v29, 0xffff0000, v29
	v_cvt_f16_f32_e32 v29, v29
	v_cvt_f16_f32_e32 v28, v28
	v_pack_b32_f16 v118, v28, v29
	;; [unrolled: 5-line block ×3, first 2 shown]
	v_lshlrev_b32_e32 v28, 16, v31
	v_and_b32_e32 v29, 0xffff0000, v31
	v_cvt_f16_f32_e32 v29, v29
	v_cvt_f16_f32_e32 v28, v28
	s_waitcnt lgkmcnt(1)
	v_pk_fma_f16 v30, v109, v119, v26 op_sel_hi:[0,1,1]
	s_waitcnt lgkmcnt(0)
	v_pk_fma_f16 v26, v116, v119, v22 op_sel_hi:[0,1,1]
	v_pack_b32_f16 v120, v28, v29
	v_pk_fma_f16 v28, v109, v117, v24 op_sel_hi:[0,1,1]
	v_pk_fma_f16 v24, v116, v117, v20 op_sel_hi:[0,1,1]
	;; [unrolled: 1-line block ×6, first 2 shown]
	global_load_dwordx4 v[20:23], v[114:115], off offset:128
	s_waitcnt vmcnt(0)
	v_lshlrev_b32_e32 v114, 16, v20
	v_and_b32_e32 v20, 0xffff0000, v20
	v_cvt_f16_f32_e32 v20, v20
	v_cvt_f16_f32_e32 v114, v114
	scratch_store_dwordx4 off, v[28:31], off
	scratch_store_dwordx4 off, v[24:27], off offset:32
	v_pack_b32_f16 v114, v114, v20
	v_lshlrev_b32_e32 v20, 16, v21
	v_and_b32_e32 v21, 0xffff0000, v21
	v_cvt_f16_f32_e32 v21, v21
	v_cvt_f16_f32_e32 v20, v20
	v_pack_b32_f16 v115, v20, v21
	v_lshlrev_b32_e32 v20, 16, v22
	v_and_b32_e32 v21, 0xffff0000, v22
	v_cvt_f16_f32_e32 v21, v21
	v_cvt_f16_f32_e32 v20, v20
	;; [unrolled: 5-line block ×3, first 2 shown]
	v_pk_fma_f16 v22, v109, v117, v18 op_sel_hi:[0,1,1]
	v_pk_fma_f16 v18, v116, v117, v112 op_sel_hi:[0,1,1]
	v_pack_b32_f16 v118, v20, v21
	v_pk_fma_f16 v20, v109, v114, v16 op_sel_hi:[0,1,1]
	v_pk_fma_f16 v16, v116, v114, v110 op_sel_hi:[0,1,1]
	;; [unrolled: 1-line block ×6, first 2 shown]
	scratch_store_dwordx4 off, v[20:23], off offset:16
	scratch_store_dwordx4 off, v[16:19], off offset:48
	v_lshl_add_u64 v[116:117], v[78:79], 0, s[26:27]
	ds_read_u16 v109, v105 offset:56
	ds_read_u16 v110, v106 offset:56
	global_load_dwordx4 v[112:115], v[116:117], off
	v_lshl_add_u64 v[78:79], v[78:79], 0, s[46:47]
	s_waitcnt vmcnt(0)
	v_lshlrev_b32_e32 v111, 16, v112
	v_and_b32_e32 v112, 0xffff0000, v112
	v_cvt_f16_f32_e32 v112, v112
	v_cvt_f16_f32_e32 v111, v111
	v_pack_b32_f16 v111, v111, v112
	v_lshlrev_b32_e32 v112, 16, v113
	v_and_b32_e32 v113, 0xffff0000, v113
	v_cvt_f16_f32_e32 v113, v113
	v_cvt_f16_f32_e32 v112, v112
	s_waitcnt lgkmcnt(0)
	v_pk_fma_f16 v24, v110, v111, v24 op_sel_hi:[0,1,1]
	v_pk_fma_f16 v28, v109, v111, v28 op_sel_hi:[0,1,1]
	v_pack_b32_f16 v112, v112, v113
	v_lshlrev_b32_e32 v113, 16, v114
	v_and_b32_e32 v114, 0xffff0000, v114
	v_cvt_f16_f32_e32 v114, v114
	v_cvt_f16_f32_e32 v113, v113
	v_pk_fma_f16 v25, v110, v112, v25 op_sel_hi:[0,1,1]
	v_pk_fma_f16 v29, v109, v112, v29 op_sel_hi:[0,1,1]
	v_pack_b32_f16 v113, v113, v114
	v_lshlrev_b32_e32 v114, 16, v115
	v_and_b32_e32 v115, 0xffff0000, v115
	v_cvt_f16_f32_e32 v115, v115
	v_cvt_f16_f32_e32 v114, v114
	v_pk_fma_f16 v26, v110, v113, v26 op_sel_hi:[0,1,1]
	v_pk_fma_f16 v30, v109, v113, v30 op_sel_hi:[0,1,1]
	v_pack_b32_f16 v114, v114, v115
	v_pk_fma_f16 v27, v110, v114, v27 op_sel_hi:[0,1,1]
	scratch_store_dwordx4 off, v[24:27], off offset:32
	global_load_dwordx4 v[24:27], v[116:117], off offset:128
	v_pk_fma_f16 v31, v109, v114, v31 op_sel_hi:[0,1,1]
	scratch_store_dwordx4 off, v[28:31], off
	s_waitcnt vmcnt(1)
	s_nop 0
	v_lshlrev_b32_e32 v28, 16, v24
	v_and_b32_e32 v24, 0xffff0000, v24
	v_cvt_f16_f32_e32 v24, v24
	v_cvt_f16_f32_e32 v28, v28
	v_pack_b32_f16 v24, v28, v24
	v_lshlrev_b32_e32 v28, 16, v25
	v_and_b32_e32 v25, 0xffff0000, v25
	v_cvt_f16_f32_e32 v25, v25
	v_cvt_f16_f32_e32 v28, v28
	v_pk_fma_f16 v20, v109, v24, v20 op_sel_hi:[0,1,1]
	v_pk_fma_f16 v16, v110, v24, v16 op_sel_hi:[0,1,1]
	v_pack_b32_f16 v25, v28, v25
	v_lshlrev_b32_e32 v28, 16, v26
	v_and_b32_e32 v26, 0xffff0000, v26
	v_cvt_f16_f32_e32 v26, v26
	v_cvt_f16_f32_e32 v28, v28
	v_pk_fma_f16 v21, v109, v25, v21 op_sel_hi:[0,1,1]
	v_pk_fma_f16 v17, v110, v25, v17 op_sel_hi:[0,1,1]
	;; [unrolled: 7-line block ×3, first 2 shown]
	v_pack_b32_f16 v27, v28, v27
	v_pk_fma_f16 v23, v109, v27, v23 op_sel_hi:[0,1,1]
	v_pk_fma_f16 v19, v110, v27, v19 op_sel_hi:[0,1,1]
	scratch_store_dwordx4 off, v[20:23], off offset:16
	scratch_store_dwordx4 off, v[16:19], off offset:48
	s_cbranch_scc1 .LBB22_66
.LBB22_18:                              ; =>This Inner Loop Header: Depth=1
	s_nop 0
	v_lshl_add_u64 v[16:17], v[72:73], 0, s[30:31]
	global_load_dword v19, v[16:17], off offset:2
	global_load_dword v20, v[16:17], off offset:20
	;; [unrolled: 1-line block ×4, first 2 shown]
	v_lshl_add_u64 v[16:17], v[74:75], 0, s[30:31]
	global_load_ushort v21, v[16:17], off offset:-54
	global_load_ushort v22, v[16:17], off offset:-36
	;; [unrolled: 1-line block ×3, first 2 shown]
	global_load_ushort v18, v[16:17], off
	v_mov_b32_e32 v16, 0
	v_mov_b32_e32 v17, 0
	;; [unrolled: 1-line block ×8, first 2 shown]
	s_waitcnt vmcnt(7)
	v_and_b32_e32 v29, 0xf0f0f0f, v19
	v_lshrrev_b32_e32 v19, 4, v19
	v_and_b32_e32 v30, 0xf0f0f0f, v19
	v_dot4c_i32_i8_e32 v16, v29, v36
	s_waitcnt vmcnt(6)
	v_and_b32_e32 v27, 0xf0f0f0f, v20
	v_lshrrev_b32_e32 v20, 4, v20
	v_dot4c_i32_i8_e32 v17, v30, v37
	v_cvt_f32_i32_e32 v16, v16
	v_and_b32_e32 v28, 0xf0f0f0f, v20
	v_dot4c_i32_i8_e32 v31, v27, v38
	v_cvt_f32_i32_e32 v17, v17
	s_waitcnt vmcnt(5)
	v_and_b32_e32 v25, 0xf0f0f0f, v24
	v_lshrrev_b32_e32 v114, 4, v24
	v_cvt_f32_i32_e32 v20, v31
	v_dot4c_i32_i8_e32 v109, v28, v39
	s_waitcnt vmcnt(4)
	v_and_b32_e32 v24, 0xf0f0f0f, v26
	v_lshrrev_b32_e32 v115, 4, v26
	v_and_b32_e32 v26, 0xf0f0f0f, v114
	v_dot4c_i32_i8_e32 v110, v25, v40
	v_cvt_f32_i32_e32 v109, v109
	v_dot4c_i32_i8_e32 v111, v26, v41
	v_fma_f32 v16, v0, v16, -v1
	v_cvt_f32_i32_e32 v31, v110
	v_and_b32_e32 v19, 0xf0f0f0f, v115
	v_dot4c_i32_i8_e32 v112, v24, v42
	v_cvt_f32_i32_e32 v111, v111
	s_waitcnt vmcnt(3)
	v_fma_mix_f32 v16, v16, v21, 0 op_sel_hi:[0,1,0]
	v_fma_f32 v17, v0, v17, -v1
	v_cvt_f32_i32_e32 v110, v112
	v_dot4c_i32_i8_e32 v113, v19, v43
	v_fma_f32 v20, v2, v20, -v3
	v_fma_mix_f32 v16, v17, v21, v16 op_sel_hi:[0,1,0]
	v_fma_f32 v109, v2, v109, -v3
	v_cvt_f32_i32_e32 v112, v113
	s_waitcnt vmcnt(2)
	v_fma_mix_f32 v16, v20, v22, v16 op_sel_hi:[0,1,0]
	v_fma_f32 v31, v4, v31, -v5
	v_fma_mix_f32 v16, v109, v22, v16 op_sel_hi:[0,1,0]
	v_fma_f32 v111, v4, v111, -v5
	s_waitcnt vmcnt(1)
	v_fma_mix_f32 v16, v31, v23, v16 op_sel_hi:[0,1,0]
	v_fma_f32 v110, v6, v110, -v7
	v_fma_mix_f32 v16, v111, v23, v16 op_sel_hi:[0,1,0]
	s_waitcnt vmcnt(0)
	v_fma_mix_f32 v16, v110, v18, v16 op_sel_hi:[0,1,0]
	v_fma_f32 v17, v6, v112, -v7
	v_fma_mix_f32 v16, v17, v18, v16 op_sel_hi:[0,1,0]
	ds_bpermute_b32 v17, v100, v16
	s_waitcnt lgkmcnt(0)
	v_add_f32_e32 v16, v16, v17
	ds_bpermute_b32 v17, v101, v16
	s_waitcnt lgkmcnt(0)
	v_add_f32_e32 v16, v16, v17
	v_cmp_nlt_f32_e64 s[12:13], |v16|, s2
                                        ; implicit-def: $vgpr17
	s_and_saveexec_b64 s[14:15], s[12:13]
	s_xor_b64 s[12:13], exec, s[14:15]
	s_cbranch_execz .LBB22_20
; %bb.19:                               ;   in Loop: Header=BB22_18 Depth=1
	v_add_f32_e64 v17, |v16|, |v16|
	v_mul_f32_e32 v20, 0x3fb8aa3b, v17
	v_rndne_f32_e32 v31, v20
	v_sub_f32_e32 v109, v20, v31
	v_fma_f32 v20, v17, s25, -v20
	v_fmac_f32_e32 v20, 0x32a5705f, v17
	v_add_f32_e32 v20, v109, v20
	v_cvt_i32_f32_e32 v31, v31
	v_exp_f32_e32 v20, v20
	v_cmp_ngt_f32_e32 vcc, s35, v17
	v_ldexp_f32 v20, v20, v31
	s_nop 0
	v_cndmask_b32_e32 v20, 0, v20, vcc
	v_cmp_nlt_f32_e32 vcc, s40, v17
	s_nop 1
	v_cndmask_b32_e32 v17, v108, v20, vcc
	v_add_f32_e32 v17, 1.0, v17
	v_rcp_f32_e32 v17, v17
	s_nop 0
	v_fma_f32 v17, v17, -2.0, 1.0
.LBB22_20:                              ;   in Loop: Header=BB22_18 Depth=1
	s_andn2_saveexec_b64 s[12:13], s[12:13]
; %bb.21:                               ;   in Loop: Header=BB22_18 Depth=1
	v_mul_f32_e32 v17, v16, v16
	v_fmamk_f32 v20, v17, 0xbbbac73d, v107
	v_fmaak_f32 v20, v17, v20, 0xbd5c1c4e
	v_fmaak_f32 v20, v17, v20, 0x3e088382
	;; [unrolled: 1-line block ×3, first 2 shown]
	v_mul_f32_e64 v20, |v16|, v20
	v_fma_f32 v17, v17, v20, |v16|
; %bb.22:                               ;   in Loop: Header=BB22_18 Depth=1
	s_or_b64 exec, exec, s[12:13]
	v_bfi_b32 v16, s41, v17, v16
	v_mul_f32_e32 v20, s23, v16
	v_cndmask_b32_e64 v16, 0, 1, s[52:53]
	v_cmp_ne_u32_e64 s[12:13], 1, v16
	s_andn2_b64 vcc, exec, s[52:53]
	v_lshl_add_u64 v[16:17], v[56:57], 0, s[28:29]
	s_cbranch_vccnz .LBB22_24
; %bb.23:                               ;   in Loop: Header=BB22_18 Depth=1
	global_load_ushort v31, v[16:17], off
	s_waitcnt vmcnt(0)
	v_fma_mix_f32 v20, v97, v31, v20 op_sel_hi:[0,1,0]
.LBB22_24:                              ;   in Loop: Header=BB22_18 Depth=1
	v_mov_b32_e32 v31, 0
	v_dot4c_i32_i8_e32 v31, v29, v44
	v_cvt_f32_f16_e32 v21, v21
	v_cvt_f32_f16_e32 v22, v22
	;; [unrolled: 1-line block ×3, first 2 shown]
	v_cvt_f32_i32_e32 v29, v31
	v_mov_b32_e32 v31, 0
	v_dot4c_i32_i8_e32 v31, v30, v45
	v_cvt_f32_f16_e32 v18, v18
	v_fma_f32 v29, v8, v29, -v9
	v_fma_f32 v29, v29, v21, 0
	v_cvt_f32_i32_e32 v30, v31
	v_mov_b32_e32 v31, 0
	v_dot4c_i32_i8_e32 v31, v27, v46
	v_fma_f32 v30, v8, v30, -v9
	v_fmac_f32_e32 v29, v30, v21
	s_nop 0
	v_cvt_f32_i32_e32 v27, v31
	v_mov_b32_e32 v31, 0
	v_dot4c_i32_i8_e32 v31, v28, v47
	v_fma_f32 v21, v10, v27, -v11
	v_mov_b32_e32 v27, 0
	s_nop 0
	v_cvt_f32_i32_e32 v28, v31
	v_dot4c_i32_i8_e32 v27, v25, v48
	v_fmac_f32_e32 v29, v21, v22
	v_fma_f32 v21, v10, v28, -v11
	s_nop 0
	v_cvt_f32_i32_e32 v25, v27
	v_mov_b32_e32 v27, 0
	v_dot4c_i32_i8_e32 v27, v26, v49
	v_fmac_f32_e32 v29, v21, v22
	v_mov_b32_e32 v22, 0
	v_dot4c_i32_i8_e32 v22, v24, v50
	v_cvt_f32_i32_e32 v26, v27
	v_mov_b32_e32 v24, 0
	v_dot4c_i32_i8_e32 v24, v19, v51
	v_cvt_f32_i32_e32 v22, v22
	v_fma_f32 v21, v12, v25, -v13
	v_fmac_f32_e32 v29, v21, v23
	v_cvt_f32_i32_e32 v19, v24
	v_fma_f32 v21, v12, v26, -v13
	v_fmac_f32_e32 v29, v21, v23
	v_fma_f32 v21, v14, v22, -v15
	v_fmac_f32_e32 v29, v21, v18
	;; [unrolled: 2-line block ×3, first 2 shown]
	ds_bpermute_b32 v18, v100, v29
	s_waitcnt lgkmcnt(0)
	v_add_f32_e32 v18, v29, v18
	ds_bpermute_b32 v19, v101, v18
	s_waitcnt lgkmcnt(0)
	v_add_f32_e32 v18, v18, v19
	v_cmp_nlt_f32_e64 s[14:15], |v18|, s2
                                        ; implicit-def: $vgpr19
	s_and_saveexec_b64 s[38:39], s[14:15]
	s_xor_b64 s[14:15], exec, s[38:39]
	s_cbranch_execz .LBB22_26
; %bb.25:                               ;   in Loop: Header=BB22_18 Depth=1
	v_add_f32_e64 v19, |v18|, |v18|
	v_mul_f32_e32 v21, 0x3fb8aa3b, v19
	v_rndne_f32_e32 v22, v21
	v_sub_f32_e32 v23, v21, v22
	v_fma_f32 v21, v19, s25, -v21
	v_fmac_f32_e32 v21, 0x32a5705f, v19
	v_add_f32_e32 v21, v23, v21
	v_cvt_i32_f32_e32 v22, v22
	v_exp_f32_e32 v21, v21
	v_cmp_ngt_f32_e32 vcc, s35, v19
	v_ldexp_f32 v21, v21, v22
	s_nop 0
	v_cndmask_b32_e32 v21, 0, v21, vcc
	v_cmp_nlt_f32_e32 vcc, s40, v19
	s_nop 1
	v_cndmask_b32_e32 v19, v108, v21, vcc
	v_add_f32_e32 v19, 1.0, v19
	v_rcp_f32_e32 v19, v19
	s_nop 0
	v_fma_f32 v19, v19, -2.0, 1.0
.LBB22_26:                              ;   in Loop: Header=BB22_18 Depth=1
	s_andn2_saveexec_b64 s[14:15], s[14:15]
; %bb.27:                               ;   in Loop: Header=BB22_18 Depth=1
	v_mul_f32_e32 v19, v18, v18
	v_fmamk_f32 v21, v19, 0xbbbac73d, v107
	v_fmaak_f32 v21, v19, v21, 0xbd5c1c4e
	v_fmaak_f32 v21, v19, v21, 0x3e088382
	;; [unrolled: 1-line block ×3, first 2 shown]
	v_mul_f32_e64 v21, |v18|, v21
	v_fma_f32 v19, v19, v21, |v18|
; %bb.28:                               ;   in Loop: Header=BB22_18 Depth=1
	s_or_b64 exec, exec, s[14:15]
	v_bfi_b32 v18, s41, v19, v18
	v_cndmask_b32_e64 v19, 0, 1, s[54:55]
	v_cmp_ne_u32_e64 s[14:15], 1, v19
	s_andn2_b64 vcc, exec, s[54:55]
	v_mul_f32_e32 v21, s23, v18
	s_cbranch_vccnz .LBB22_30
; %bb.29:                               ;   in Loop: Header=BB22_18 Depth=1
	v_lshl_add_u64 v[18:19], v[54:55], 0, s[28:29]
	global_load_ushort v18, v[18:19], off
	s_waitcnt vmcnt(0)
	v_fma_mix_f32 v21, v97, v18, v21 op_sel_hi:[0,1,0]
.LBB22_30:                              ;   in Loop: Header=BB22_18 Depth=1
	v_lshl_add_u64 v[18:19], v[66:67], 0, s[30:31]
	global_load_dword v22, v[18:19], off offset:2
	global_load_dword v23, v[18:19], off offset:20
	;; [unrolled: 1-line block ×4, first 2 shown]
	v_lshl_add_u64 v[18:19], v[70:71], 0, s[30:31]
	global_load_ushort v24, v[18:19], off
	global_load_ushort v25, v[18:19], off offset:18
	global_load_ushort v26, v[18:19], off offset:36
	s_nop 0
	global_load_ushort v18, v[18:19], off offset:54
	v_mov_b32_e32 v110, 0
	v_mov_b32_e32 v111, 0
	;; [unrolled: 1-line block ×8, first 2 shown]
	s_waitcnt vmcnt(7)
	v_and_b32_e32 v31, 0xf0f0f0f, v22
	v_lshrrev_b32_e32 v19, 4, v22
	s_waitcnt vmcnt(6)
	v_lshrrev_b32_e32 v22, 4, v23
	v_and_b32_e32 v109, 0xf0f0f0f, v19
	v_dot4c_i32_i8_e32 v110, v31, v36
	v_and_b32_e32 v29, 0xf0f0f0f, v23
	s_waitcnt vmcnt(4)
	v_and_b32_e32 v23, 0xf0f0f0f, v30
	v_lshrrev_b32_e32 v118, 4, v30
	v_and_b32_e32 v30, 0xf0f0f0f, v22
	v_cvt_f32_i32_e32 v22, v110
	v_dot4c_i32_i8_e32 v111, v109, v37
	v_dot4c_i32_i8_e32 v112, v29, v38
	v_and_b32_e32 v27, 0xf0f0f0f, v28
	v_lshrrev_b32_e32 v28, 4, v28
	v_cvt_f32_i32_e32 v111, v111
	v_cvt_f32_i32_e32 v110, v112
	v_dot4c_i32_i8_e32 v113, v30, v39
	v_and_b32_e32 v28, 0xf0f0f0f, v28
	v_dot4c_i32_i8_e32 v114, v27, v40
	v_dot4c_i32_i8_e32 v115, v28, v41
	v_cvt_f32_i32_e32 v113, v113
	v_fma_f32 v22, v0, v22, -v1
	v_cvt_f32_i32_e32 v112, v114
	v_and_b32_e32 v19, 0xf0f0f0f, v118
	v_dot4c_i32_i8_e32 v116, v23, v42
	v_cvt_f32_i32_e32 v115, v115
	s_waitcnt vmcnt(3)
	v_fma_mix_f32 v22, v22, v24, 0 op_sel_hi:[0,1,0]
	v_fma_f32 v111, v0, v111, -v1
	v_cvt_f32_i32_e32 v114, v116
	v_dot4c_i32_i8_e32 v117, v19, v43
	v_fma_f32 v110, v2, v110, -v3
	v_fma_mix_f32 v22, v111, v24, v22 op_sel_hi:[0,1,0]
	v_fma_f32 v113, v2, v113, -v3
	v_cvt_f32_i32_e32 v116, v117
	s_waitcnt vmcnt(2)
	v_fma_mix_f32 v22, v110, v25, v22 op_sel_hi:[0,1,0]
	v_fma_f32 v112, v4, v112, -v5
	v_fma_mix_f32 v22, v113, v25, v22 op_sel_hi:[0,1,0]
	v_fma_f32 v115, v4, v115, -v5
	s_waitcnt vmcnt(1)
	v_fma_mix_f32 v22, v112, v26, v22 op_sel_hi:[0,1,0]
	v_fma_f32 v114, v6, v114, -v7
	v_fma_mix_f32 v22, v115, v26, v22 op_sel_hi:[0,1,0]
	s_waitcnt vmcnt(0)
	v_fma_mix_f32 v22, v114, v18, v22 op_sel_hi:[0,1,0]
	v_fma_f32 v110, v6, v116, -v7
	v_fma_mix_f32 v22, v110, v18, v22 op_sel_hi:[0,1,0]
	ds_bpermute_b32 v110, v100, v22
	s_waitcnt lgkmcnt(0)
	v_add_f32_e32 v22, v22, v110
	ds_bpermute_b32 v110, v101, v22
	s_waitcnt lgkmcnt(0)
	v_add_f32_e32 v22, v22, v110
	v_cmp_nlt_f32_e64 s[38:39], |v22|, s2
                                        ; implicit-def: $vgpr110
	s_and_saveexec_b64 s[42:43], s[38:39]
	s_xor_b64 s[38:39], exec, s[42:43]
	s_cbranch_execz .LBB22_32
; %bb.31:                               ;   in Loop: Header=BB22_18 Depth=1
	v_add_f32_e64 v110, |v22|, |v22|
	v_mul_f32_e32 v111, 0x3fb8aa3b, v110
	v_rndne_f32_e32 v112, v111
	v_sub_f32_e32 v113, v111, v112
	v_fma_f32 v111, v110, s25, -v111
	v_fmac_f32_e32 v111, 0x32a5705f, v110
	v_add_f32_e32 v111, v113, v111
	v_cvt_i32_f32_e32 v112, v112
	v_exp_f32_e32 v111, v111
	v_cmp_ngt_f32_e32 vcc, s35, v110
	v_ldexp_f32 v111, v111, v112
	s_nop 0
	v_cndmask_b32_e32 v111, 0, v111, vcc
	v_cmp_nlt_f32_e32 vcc, s40, v110
	s_nop 1
	v_cndmask_b32_e32 v110, v108, v111, vcc
	v_add_f32_e32 v110, 1.0, v110
	v_rcp_f32_e32 v110, v110
	s_nop 0
	v_fma_f32 v110, v110, -2.0, 1.0
.LBB22_32:                              ;   in Loop: Header=BB22_18 Depth=1
	s_andn2_saveexec_b64 s[38:39], s[38:39]
; %bb.33:                               ;   in Loop: Header=BB22_18 Depth=1
	v_mul_f32_e32 v110, v22, v22
	v_fmamk_f32 v111, v110, 0xbbbac73d, v107
	v_fmaak_f32 v111, v110, v111, 0xbd5c1c4e
	v_fmaak_f32 v111, v110, v111, 0x3e088382
	;; [unrolled: 1-line block ×3, first 2 shown]
	v_mul_f32_e64 v111, |v22|, v111
	v_fma_f32 v110, v110, v111, |v22|
; %bb.34:                               ;   in Loop: Header=BB22_18 Depth=1
	s_or_b64 exec, exec, s[38:39]
	v_bfi_b32 v22, s41, v110, v22
	s_and_b64 vcc, exec, s[12:13]
	v_mul_f32_e32 v22, s23, v22
	s_cbranch_vccnz .LBB22_36
; %bb.35:                               ;   in Loop: Header=BB22_18 Depth=1
	global_load_ushort v110, v[16:17], off offset:2
	s_waitcnt vmcnt(0)
	v_fma_mix_f32 v22, v97, v110, v22 op_sel_hi:[0,1,0]
.LBB22_36:                              ;   in Loop: Header=BB22_18 Depth=1
	v_mov_b32_e32 v110, 0
	v_dot4c_i32_i8_e32 v110, v31, v44
	v_cvt_f32_f16_e32 v24, v24
	v_cvt_f32_f16_e32 v25, v25
	;; [unrolled: 1-line block ×3, first 2 shown]
	v_cvt_f32_i32_e32 v31, v110
	v_mov_b32_e32 v110, 0
	v_dot4c_i32_i8_e32 v110, v109, v45
	v_cvt_f32_f16_e32 v18, v18
	v_fma_f32 v31, v8, v31, -v9
	v_fma_f32 v31, v31, v24, 0
	v_cvt_f32_i32_e32 v109, v110
	v_mov_b32_e32 v110, 0
	v_dot4c_i32_i8_e32 v110, v29, v46
	v_fma_f32 v109, v8, v109, -v9
	v_fmac_f32_e32 v31, v109, v24
	s_nop 0
	v_cvt_f32_i32_e32 v29, v110
	v_mov_b32_e32 v110, 0
	v_dot4c_i32_i8_e32 v110, v30, v47
	v_fma_f32 v24, v10, v29, -v11
	v_mov_b32_e32 v29, 0
	s_nop 0
	v_cvt_f32_i32_e32 v30, v110
	v_fmac_f32_e32 v31, v24, v25
	v_dot4c_i32_i8_e32 v29, v27, v48
	v_fma_f32 v24, v10, v30, -v11
	v_fmac_f32_e32 v31, v24, v25
	s_nop 0
	v_cvt_f32_i32_e32 v27, v29
	v_mov_b32_e32 v29, 0
	v_mov_b32_e32 v25, 0
	v_dot4c_i32_i8_e32 v29, v28, v49
	v_dot4c_i32_i8_e32 v25, v23, v50
	v_fma_f32 v24, v12, v27, -v13
	v_fmac_f32_e32 v31, v24, v26
	v_cvt_f32_i32_e32 v28, v29
	v_cvt_f32_i32_e32 v23, v25
	v_mov_b32_e32 v25, 0
	v_dot4c_i32_i8_e32 v25, v19, v51
	v_fma_f32 v24, v12, v28, -v13
	v_fmac_f32_e32 v31, v24, v26
	v_fma_f32 v23, v14, v23, -v15
	v_cvt_f32_i32_e32 v19, v25
	v_fmac_f32_e32 v31, v23, v18
	v_fma_f32 v19, v14, v19, -v15
	v_fmac_f32_e32 v31, v19, v18
	ds_bpermute_b32 v18, v100, v31
	s_waitcnt lgkmcnt(0)
	v_add_f32_e32 v18, v31, v18
	ds_bpermute_b32 v19, v101, v18
	s_waitcnt lgkmcnt(0)
	v_add_f32_e32 v18, v18, v19
	v_cmp_nlt_f32_e64 s[38:39], |v18|, s2
                                        ; implicit-def: $vgpr19
	s_and_saveexec_b64 s[42:43], s[38:39]
	s_xor_b64 s[38:39], exec, s[42:43]
	s_cbranch_execz .LBB22_38
; %bb.37:                               ;   in Loop: Header=BB22_18 Depth=1
	v_add_f32_e64 v19, |v18|, |v18|
	v_mul_f32_e32 v23, 0x3fb8aa3b, v19
	v_rndne_f32_e32 v24, v23
	v_sub_f32_e32 v25, v23, v24
	v_fma_f32 v23, v19, s25, -v23
	v_fmac_f32_e32 v23, 0x32a5705f, v19
	v_add_f32_e32 v23, v25, v23
	v_cvt_i32_f32_e32 v24, v24
	v_exp_f32_e32 v23, v23
	v_cmp_ngt_f32_e32 vcc, s35, v19
	v_ldexp_f32 v23, v23, v24
	s_nop 0
	v_cndmask_b32_e32 v23, 0, v23, vcc
	v_cmp_nlt_f32_e32 vcc, s40, v19
	s_nop 1
	v_cndmask_b32_e32 v19, v108, v23, vcc
	v_add_f32_e32 v19, 1.0, v19
	v_rcp_f32_e32 v19, v19
	s_nop 0
	v_fma_f32 v19, v19, -2.0, 1.0
.LBB22_38:                              ;   in Loop: Header=BB22_18 Depth=1
	s_andn2_saveexec_b64 s[38:39], s[38:39]
; %bb.39:                               ;   in Loop: Header=BB22_18 Depth=1
	v_mul_f32_e32 v19, v18, v18
	v_fmamk_f32 v23, v19, 0xbbbac73d, v107
	v_fmaak_f32 v23, v19, v23, 0xbd5c1c4e
	v_fmaak_f32 v23, v19, v23, 0x3e088382
	;; [unrolled: 1-line block ×3, first 2 shown]
	v_mul_f32_e64 v23, |v18|, v23
	v_fma_f32 v19, v19, v23, |v18|
; %bb.40:                               ;   in Loop: Header=BB22_18 Depth=1
	s_or_b64 exec, exec, s[38:39]
	v_bfi_b32 v18, s41, v19, v18
	v_mul_f32_e32 v23, s23, v18
	s_and_b64 vcc, exec, s[14:15]
	v_lshl_add_u64 v[18:19], v[62:63], 0, s[28:29]
	s_cbranch_vccnz .LBB22_42
; %bb.41:                               ;   in Loop: Header=BB22_18 Depth=1
	global_load_ushort v24, v[18:19], off offset:2
	s_waitcnt vmcnt(0)
	v_fma_mix_f32 v23, v97, v24, v23 op_sel_hi:[0,1,0]
.LBB22_42:                              ;   in Loop: Header=BB22_18 Depth=1
	v_lshl_add_u64 v[24:25], v[60:61], 0, s[30:31]
	global_load_dword v26, v[24:25], off offset:2
	global_load_dword v27, v[24:25], off offset:20
	;; [unrolled: 1-line block ×4, first 2 shown]
	v_lshl_add_u64 v[24:25], v[64:65], 0, s[30:31]
	global_load_ushort v28, v[24:25], off
	global_load_ushort v29, v[24:25], off offset:18
	global_load_ushort v30, v[24:25], off offset:36
	s_nop 0
	global_load_ushort v25, v[24:25], off offset:54
	v_mov_b32_e32 v24, 0
	v_mov_b32_e32 v114, 0
	;; [unrolled: 1-line block ×8, first 2 shown]
	s_waitcnt vmcnt(7)
	v_and_b32_e32 v112, 0xf0f0f0f, v26
	v_lshrrev_b32_e32 v26, 4, v26
	v_and_b32_e32 v113, 0xf0f0f0f, v26
	v_dot4c_i32_i8_e32 v24, v112, v36
	s_waitcnt vmcnt(6)
	v_and_b32_e32 v110, 0xf0f0f0f, v27
	v_lshrrev_b32_e32 v121, 4, v27
	v_dot4c_i32_i8_e32 v114, v113, v37
	v_cvt_f32_i32_e32 v24, v24
	s_waitcnt vmcnt(4)
	v_and_b32_e32 v27, 0xf0f0f0f, v111
	v_lshrrev_b32_e32 v122, 4, v111
	v_and_b32_e32 v111, 0xf0f0f0f, v121
	v_dot4c_i32_i8_e32 v115, v110, v38
	v_cvt_f32_i32_e32 v114, v114
	v_and_b32_e32 v31, 0xf0f0f0f, v109
	v_lshrrev_b32_e32 v109, 4, v109
	v_cvt_f32_i32_e32 v115, v115
	v_dot4c_i32_i8_e32 v116, v111, v39
	v_and_b32_e32 v109, 0xf0f0f0f, v109
	v_dot4c_i32_i8_e32 v117, v31, v40
	v_dot4c_i32_i8_e32 v118, v109, v41
	v_cvt_f32_i32_e32 v116, v116
	v_fma_f32 v24, v0, v24, -v1
	v_cvt_f32_i32_e32 v117, v117
	v_and_b32_e32 v26, 0xf0f0f0f, v122
	v_dot4c_i32_i8_e32 v119, v27, v42
	v_cvt_f32_i32_e32 v118, v118
	s_waitcnt vmcnt(3)
	v_fma_mix_f32 v24, v24, v28, 0 op_sel_hi:[0,1,0]
	v_fma_f32 v114, v0, v114, -v1
	v_cvt_f32_i32_e32 v119, v119
	v_dot4c_i32_i8_e32 v120, v26, v43
	v_fma_f32 v115, v2, v115, -v3
	v_fma_mix_f32 v24, v114, v28, v24 op_sel_hi:[0,1,0]
	v_fma_f32 v116, v2, v116, -v3
	v_cvt_f32_i32_e32 v120, v120
	s_waitcnt vmcnt(2)
	v_fma_mix_f32 v24, v115, v29, v24 op_sel_hi:[0,1,0]
	v_fma_f32 v117, v4, v117, -v5
	v_fma_mix_f32 v24, v116, v29, v24 op_sel_hi:[0,1,0]
	v_fma_f32 v118, v4, v118, -v5
	s_waitcnt vmcnt(1)
	v_fma_mix_f32 v24, v117, v30, v24 op_sel_hi:[0,1,0]
	v_fma_f32 v119, v6, v119, -v7
	v_fma_mix_f32 v24, v118, v30, v24 op_sel_hi:[0,1,0]
	s_waitcnt vmcnt(0)
	v_fma_mix_f32 v24, v119, v25, v24 op_sel_hi:[0,1,0]
	v_fma_f32 v114, v6, v120, -v7
	v_fma_mix_f32 v24, v114, v25, v24 op_sel_hi:[0,1,0]
	ds_bpermute_b32 v114, v100, v24
	s_waitcnt lgkmcnt(0)
	v_add_f32_e32 v24, v24, v114
	ds_bpermute_b32 v114, v101, v24
	s_waitcnt lgkmcnt(0)
	v_add_f32_e32 v24, v24, v114
	v_cmp_nlt_f32_e64 s[38:39], |v24|, s2
                                        ; implicit-def: $vgpr114
	s_and_saveexec_b64 s[42:43], s[38:39]
	s_xor_b64 s[38:39], exec, s[42:43]
	s_cbranch_execz .LBB22_44
; %bb.43:                               ;   in Loop: Header=BB22_18 Depth=1
	v_add_f32_e64 v114, |v24|, |v24|
	v_mul_f32_e32 v115, 0x3fb8aa3b, v114
	v_rndne_f32_e32 v116, v115
	v_sub_f32_e32 v117, v115, v116
	v_fma_f32 v115, v114, s25, -v115
	v_fmac_f32_e32 v115, 0x32a5705f, v114
	v_add_f32_e32 v115, v117, v115
	v_cvt_i32_f32_e32 v116, v116
	v_exp_f32_e32 v115, v115
	v_cmp_ngt_f32_e32 vcc, s35, v114
	v_ldexp_f32 v115, v115, v116
	s_nop 0
	v_cndmask_b32_e32 v115, 0, v115, vcc
	v_cmp_nlt_f32_e32 vcc, s40, v114
	s_nop 1
	v_cndmask_b32_e32 v114, v108, v115, vcc
	v_add_f32_e32 v114, 1.0, v114
	v_rcp_f32_e32 v114, v114
	s_nop 0
	v_fma_f32 v114, v114, -2.0, 1.0
.LBB22_44:                              ;   in Loop: Header=BB22_18 Depth=1
	s_andn2_saveexec_b64 s[38:39], s[38:39]
; %bb.45:                               ;   in Loop: Header=BB22_18 Depth=1
	v_mul_f32_e32 v114, v24, v24
	v_fmamk_f32 v115, v114, 0xbbbac73d, v107
	v_fmaak_f32 v115, v114, v115, 0xbd5c1c4e
	v_fmaak_f32 v115, v114, v115, 0x3e088382
	;; [unrolled: 1-line block ×3, first 2 shown]
	v_mul_f32_e64 v115, |v24|, v115
	v_fma_f32 v114, v114, v115, |v24|
; %bb.46:                               ;   in Loop: Header=BB22_18 Depth=1
	s_or_b64 exec, exec, s[38:39]
	v_bfi_b32 v24, s41, v114, v24
	s_and_b64 vcc, exec, s[12:13]
	v_mul_f32_e32 v24, s23, v24
	s_cbranch_vccnz .LBB22_48
; %bb.47:                               ;   in Loop: Header=BB22_18 Depth=1
	global_load_ushort v114, v[16:17], off offset:4
	s_waitcnt vmcnt(0)
	v_fma_mix_f32 v24, v97, v114, v24 op_sel_hi:[0,1,0]
.LBB22_48:                              ;   in Loop: Header=BB22_18 Depth=1
	v_mov_b32_e32 v114, 0
	v_dot4c_i32_i8_e32 v114, v112, v44
	v_cvt_f32_f16_e32 v28, v28
	v_cvt_f32_f16_e32 v29, v29
	;; [unrolled: 1-line block ×3, first 2 shown]
	v_cvt_f32_i32_e32 v112, v114
	v_mov_b32_e32 v114, 0
	v_dot4c_i32_i8_e32 v114, v113, v45
	v_cvt_f32_f16_e32 v25, v25
	v_fma_f32 v112, v8, v112, -v9
	v_fma_f32 v112, v112, v28, 0
	v_cvt_f32_i32_e32 v113, v114
	v_mov_b32_e32 v114, 0
	v_dot4c_i32_i8_e32 v114, v110, v46
	v_fma_f32 v113, v8, v113, -v9
	v_fmac_f32_e32 v112, v113, v28
	s_nop 0
	v_cvt_f32_i32_e32 v110, v114
	v_mov_b32_e32 v114, 0
	v_dot4c_i32_i8_e32 v114, v111, v47
	v_fma_f32 v28, v10, v110, -v11
	v_mov_b32_e32 v110, 0
	s_nop 0
	v_cvt_f32_i32_e32 v111, v114
	v_fmac_f32_e32 v112, v28, v29
	v_dot4c_i32_i8_e32 v110, v31, v48
	v_fma_f32 v28, v10, v111, -v11
	v_fmac_f32_e32 v112, v28, v29
	s_nop 0
	v_cvt_f32_i32_e32 v31, v110
	v_mov_b32_e32 v110, 0
	v_mov_b32_e32 v29, 0
	v_dot4c_i32_i8_e32 v110, v109, v49
	v_dot4c_i32_i8_e32 v29, v27, v50
	v_fma_f32 v28, v12, v31, -v13
	v_fmac_f32_e32 v112, v28, v30
	v_cvt_f32_i32_e32 v109, v110
	v_cvt_f32_i32_e32 v27, v29
	v_mov_b32_e32 v29, 0
	v_dot4c_i32_i8_e32 v29, v26, v51
	v_fma_f32 v28, v12, v109, -v13
	v_fmac_f32_e32 v112, v28, v30
	v_fma_f32 v27, v14, v27, -v15
	v_cvt_f32_i32_e32 v26, v29
	v_fmac_f32_e32 v112, v27, v25
	v_fma_f32 v26, v14, v26, -v15
	v_fmac_f32_e32 v112, v26, v25
	ds_bpermute_b32 v25, v100, v112
	s_waitcnt lgkmcnt(0)
	v_add_f32_e32 v25, v112, v25
	ds_bpermute_b32 v26, v101, v25
	s_waitcnt lgkmcnt(0)
	v_add_f32_e32 v25, v25, v26
	v_cmp_nlt_f32_e64 s[38:39], |v25|, s2
                                        ; implicit-def: $vgpr26
	s_and_saveexec_b64 s[42:43], s[38:39]
	s_xor_b64 s[38:39], exec, s[42:43]
	s_cbranch_execz .LBB22_50
; %bb.49:                               ;   in Loop: Header=BB22_18 Depth=1
	v_add_f32_e64 v26, |v25|, |v25|
	v_mul_f32_e32 v27, 0x3fb8aa3b, v26
	v_rndne_f32_e32 v28, v27
	v_sub_f32_e32 v29, v27, v28
	v_fma_f32 v27, v26, s25, -v27
	v_fmac_f32_e32 v27, 0x32a5705f, v26
	v_add_f32_e32 v27, v29, v27
	v_cvt_i32_f32_e32 v28, v28
	v_exp_f32_e32 v27, v27
	v_cmp_ngt_f32_e32 vcc, s35, v26
	v_ldexp_f32 v27, v27, v28
	s_nop 0
	v_cndmask_b32_e32 v27, 0, v27, vcc
	v_cmp_nlt_f32_e32 vcc, s40, v26
	s_nop 1
	v_cndmask_b32_e32 v26, v108, v27, vcc
	v_add_f32_e32 v26, 1.0, v26
	v_rcp_f32_e32 v26, v26
	s_nop 0
	v_fma_f32 v26, v26, -2.0, 1.0
.LBB22_50:                              ;   in Loop: Header=BB22_18 Depth=1
	s_andn2_saveexec_b64 s[38:39], s[38:39]
; %bb.51:                               ;   in Loop: Header=BB22_18 Depth=1
	v_mul_f32_e32 v26, v25, v25
	v_fmamk_f32 v27, v26, 0xbbbac73d, v107
	v_fmaak_f32 v27, v26, v27, 0xbd5c1c4e
	v_fmaak_f32 v27, v26, v27, 0x3e088382
	;; [unrolled: 1-line block ×3, first 2 shown]
	v_mul_f32_e64 v27, |v25|, v27
	v_fma_f32 v26, v26, v27, |v25|
; %bb.52:                               ;   in Loop: Header=BB22_18 Depth=1
	s_or_b64 exec, exec, s[38:39]
	v_bfi_b32 v25, s41, v26, v25
	s_and_b64 vcc, exec, s[14:15]
	v_mul_f32_e32 v25, s23, v25
	s_cbranch_vccnz .LBB22_54
; %bb.53:                               ;   in Loop: Header=BB22_18 Depth=1
	global_load_ushort v26, v[18:19], off offset:4
	s_waitcnt vmcnt(0)
	v_fma_mix_f32 v25, v97, v26, v25 op_sel_hi:[0,1,0]
.LBB22_54:                              ;   in Loop: Header=BB22_18 Depth=1
	v_lshl_add_u64 v[26:27], v[52:53], 0, s[30:31]
	global_load_dword v28, v[26:27], off offset:2
	global_load_dword v29, v[26:27], off offset:20
	;; [unrolled: 1-line block ×4, first 2 shown]
	v_lshl_add_u64 v[26:27], v[58:59], 0, s[30:31]
	global_load_ushort v30, v[26:27], off
	global_load_ushort v31, v[26:27], off offset:18
	global_load_ushort v109, v[26:27], off offset:36
	s_nop 0
	global_load_ushort v27, v[26:27], off offset:54
	v_mov_b32_e32 v26, 0
	v_mov_b32_e32 v116, 0
	;; [unrolled: 1-line block ×8, first 2 shown]
	s_waitcnt vmcnt(7)
	v_and_b32_e32 v114, 0xf0f0f0f, v28
	v_lshrrev_b32_e32 v28, 4, v28
	v_and_b32_e32 v115, 0xf0f0f0f, v28
	v_dot4c_i32_i8_e32 v26, v114, v36
	s_waitcnt vmcnt(6)
	v_and_b32_e32 v112, 0xf0f0f0f, v29
	v_lshrrev_b32_e32 v123, 4, v29
	v_dot4c_i32_i8_e32 v116, v115, v37
	v_cvt_f32_i32_e32 v26, v26
	s_waitcnt vmcnt(4)
	v_and_b32_e32 v29, 0xf0f0f0f, v113
	v_lshrrev_b32_e32 v124, 4, v113
	v_and_b32_e32 v113, 0xf0f0f0f, v123
	v_dot4c_i32_i8_e32 v117, v112, v38
	v_cvt_f32_i32_e32 v116, v116
	v_and_b32_e32 v110, 0xf0f0f0f, v111
	v_lshrrev_b32_e32 v111, 4, v111
	v_cvt_f32_i32_e32 v117, v117
	v_dot4c_i32_i8_e32 v118, v113, v39
	v_and_b32_e32 v111, 0xf0f0f0f, v111
	v_dot4c_i32_i8_e32 v119, v110, v40
	v_dot4c_i32_i8_e32 v120, v111, v41
	v_cvt_f32_i32_e32 v118, v118
	v_fma_f32 v26, v0, v26, -v1
	v_cvt_f32_i32_e32 v119, v119
	v_and_b32_e32 v28, 0xf0f0f0f, v124
	v_dot4c_i32_i8_e32 v121, v29, v42
	v_cvt_f32_i32_e32 v120, v120
	s_waitcnt vmcnt(3)
	v_fma_mix_f32 v26, v26, v30, 0 op_sel_hi:[0,1,0]
	v_fma_f32 v116, v0, v116, -v1
	v_cvt_f32_i32_e32 v121, v121
	v_dot4c_i32_i8_e32 v122, v28, v43
	v_fma_f32 v117, v2, v117, -v3
	v_fma_mix_f32 v26, v116, v30, v26 op_sel_hi:[0,1,0]
	v_fma_f32 v118, v2, v118, -v3
	v_cvt_f32_i32_e32 v122, v122
	s_waitcnt vmcnt(2)
	v_fma_mix_f32 v26, v117, v31, v26 op_sel_hi:[0,1,0]
	v_fma_f32 v119, v4, v119, -v5
	v_fma_mix_f32 v26, v118, v31, v26 op_sel_hi:[0,1,0]
	v_fma_f32 v120, v4, v120, -v5
	s_waitcnt vmcnt(1)
	v_fma_mix_f32 v26, v119, v109, v26 op_sel_hi:[0,1,0]
	v_fma_f32 v121, v6, v121, -v7
	v_fma_mix_f32 v26, v120, v109, v26 op_sel_hi:[0,1,0]
	s_waitcnt vmcnt(0)
	v_fma_mix_f32 v26, v121, v27, v26 op_sel_hi:[0,1,0]
	v_fma_f32 v116, v6, v122, -v7
	v_fma_mix_f32 v26, v116, v27, v26 op_sel_hi:[0,1,0]
	ds_bpermute_b32 v116, v100, v26
	s_waitcnt lgkmcnt(0)
	v_add_f32_e32 v26, v26, v116
	ds_bpermute_b32 v116, v101, v26
	s_waitcnt lgkmcnt(0)
	v_add_f32_e32 v26, v26, v116
	v_cmp_nlt_f32_e64 s[38:39], |v26|, s2
                                        ; implicit-def: $vgpr116
	s_and_saveexec_b64 s[42:43], s[38:39]
	s_xor_b64 s[38:39], exec, s[42:43]
	s_cbranch_execz .LBB22_56
; %bb.55:                               ;   in Loop: Header=BB22_18 Depth=1
	v_add_f32_e64 v116, |v26|, |v26|
	v_mul_f32_e32 v117, 0x3fb8aa3b, v116
	v_rndne_f32_e32 v118, v117
	v_sub_f32_e32 v119, v117, v118
	v_fma_f32 v117, v116, s25, -v117
	v_fmac_f32_e32 v117, 0x32a5705f, v116
	v_add_f32_e32 v117, v119, v117
	v_cvt_i32_f32_e32 v118, v118
	v_exp_f32_e32 v117, v117
	v_cmp_ngt_f32_e32 vcc, s35, v116
	v_ldexp_f32 v117, v117, v118
	s_nop 0
	v_cndmask_b32_e32 v117, 0, v117, vcc
	v_cmp_nlt_f32_e32 vcc, s40, v116
	s_nop 1
	v_cndmask_b32_e32 v116, v108, v117, vcc
	v_add_f32_e32 v116, 1.0, v116
	v_rcp_f32_e32 v116, v116
	s_nop 0
	v_fma_f32 v116, v116, -2.0, 1.0
.LBB22_56:                              ;   in Loop: Header=BB22_18 Depth=1
	s_andn2_saveexec_b64 s[38:39], s[38:39]
; %bb.57:                               ;   in Loop: Header=BB22_18 Depth=1
	v_mul_f32_e32 v116, v26, v26
	v_fmamk_f32 v117, v116, 0xbbbac73d, v107
	v_fmaak_f32 v117, v116, v117, 0xbd5c1c4e
	v_fmaak_f32 v117, v116, v117, 0x3e088382
	;; [unrolled: 1-line block ×3, first 2 shown]
	v_mul_f32_e64 v117, |v26|, v117
	v_fma_f32 v116, v116, v117, |v26|
; %bb.58:                               ;   in Loop: Header=BB22_18 Depth=1
	s_or_b64 exec, exec, s[38:39]
	v_bfi_b32 v26, s41, v116, v26
	s_and_b64 vcc, exec, s[12:13]
	v_mul_f32_e32 v26, s23, v26
	s_cbranch_vccnz .LBB22_60
; %bb.59:                               ;   in Loop: Header=BB22_18 Depth=1
	global_load_ushort v16, v[16:17], off offset:6
	s_waitcnt vmcnt(0)
	v_fma_mix_f32 v26, v97, v16, v26 op_sel_hi:[0,1,0]
.LBB22_60:                              ;   in Loop: Header=BB22_18 Depth=1
	v_cvt_f32_f16_e32 v17, v31
	v_mov_b32_e32 v31, 0
	v_cvt_f32_f16_e32 v16, v30
	v_cvt_f32_f16_e32 v30, v109
	v_dot4c_i32_i8_e32 v31, v114, v44
	v_mov_b32_e32 v109, 0
	v_mov_b32_e32 v114, 0
	v_dot4c_i32_i8_e32 v109, v115, v45
	v_cvt_f32_i32_e32 v31, v31
	v_dot4c_i32_i8_e32 v114, v112, v46
	v_cvt_f32_f16_e32 v27, v27
	v_cvt_f32_i32_e32 v109, v109
	v_fma_f32 v31, v8, v31, -v9
	v_cvt_f32_i32_e32 v112, v114
	v_mov_b32_e32 v114, 0
	v_dot4c_i32_i8_e32 v114, v113, v47
	v_fma_f32 v31, v31, v16, 0
	v_fma_f32 v109, v8, v109, -v9
	v_fmac_f32_e32 v31, v109, v16
	v_cvt_f32_i32_e32 v113, v114
	v_fma_f32 v16, v10, v112, -v11
	v_mov_b32_e32 v109, 0
	v_fmac_f32_e32 v31, v16, v17
	v_fma_f32 v16, v10, v113, -v11
	v_dot4c_i32_i8_e32 v109, v110, v48
	v_mov_b32_e32 v110, 0
	v_dot4c_i32_i8_e32 v110, v111, v49
	v_fmac_f32_e32 v31, v16, v17
	v_cvt_f32_i32_e32 v109, v109
	v_mov_b32_e32 v17, 0
	v_cvt_f32_i32_e32 v110, v110
	v_dot4c_i32_i8_e32 v17, v29, v50
	v_mov_b32_e32 v29, 0
	v_dot4c_i32_i8_e32 v29, v28, v51
	v_fma_f32 v16, v12, v109, -v13
	v_cvt_f32_i32_e32 v17, v17
	v_fmac_f32_e32 v31, v16, v30
	v_cvt_f32_i32_e32 v28, v29
	v_fma_f32 v16, v12, v110, -v13
	v_fmac_f32_e32 v31, v16, v30
	v_fma_f32 v16, v14, v17, -v15
	v_fmac_f32_e32 v31, v16, v27
	;; [unrolled: 2-line block ×3, first 2 shown]
	ds_bpermute_b32 v16, v100, v31
	s_waitcnt lgkmcnt(0)
	v_add_f32_e32 v16, v31, v16
	ds_bpermute_b32 v17, v101, v16
	s_waitcnt lgkmcnt(0)
	v_add_f32_e32 v16, v16, v17
	v_cmp_nlt_f32_e64 s[12:13], |v16|, s2
                                        ; implicit-def: $vgpr17
	s_and_saveexec_b64 s[38:39], s[12:13]
	s_xor_b64 s[12:13], exec, s[38:39]
	s_cbranch_execz .LBB22_62
; %bb.61:                               ;   in Loop: Header=BB22_18 Depth=1
	v_add_f32_e64 v17, |v16|, |v16|
	v_mul_f32_e32 v27, 0x3fb8aa3b, v17
	v_rndne_f32_e32 v28, v27
	v_sub_f32_e32 v29, v27, v28
	v_fma_f32 v27, v17, s25, -v27
	v_fmac_f32_e32 v27, 0x32a5705f, v17
	v_add_f32_e32 v27, v29, v27
	v_cvt_i32_f32_e32 v28, v28
	v_exp_f32_e32 v27, v27
	v_cmp_ngt_f32_e32 vcc, s35, v17
	v_ldexp_f32 v27, v27, v28
	s_nop 0
	v_cndmask_b32_e32 v27, 0, v27, vcc
	v_cmp_nlt_f32_e32 vcc, s40, v17
	s_nop 1
	v_cndmask_b32_e32 v17, v108, v27, vcc
	v_add_f32_e32 v17, 1.0, v17
	v_rcp_f32_e32 v17, v17
	s_nop 0
	v_fma_f32 v17, v17, -2.0, 1.0
.LBB22_62:                              ;   in Loop: Header=BB22_18 Depth=1
	s_andn2_saveexec_b64 s[12:13], s[12:13]
; %bb.63:                               ;   in Loop: Header=BB22_18 Depth=1
	v_mul_f32_e32 v17, v16, v16
	v_fmamk_f32 v27, v17, 0xbbbac73d, v107
	v_fmaak_f32 v27, v17, v27, 0xbd5c1c4e
	v_fmaak_f32 v27, v17, v27, 0x3e088382
	;; [unrolled: 1-line block ×3, first 2 shown]
	v_mul_f32_e64 v27, |v16|, v27
	v_fma_f32 v17, v17, v27, |v16|
; %bb.64:                               ;   in Loop: Header=BB22_18 Depth=1
	s_or_b64 exec, exec, s[12:13]
	v_bfi_b32 v16, s41, v17, v16
	s_and_b64 vcc, exec, s[14:15]
	v_mul_f32_e32 v16, s23, v16
	s_cbranch_vccnz .LBB22_17
; %bb.65:                               ;   in Loop: Header=BB22_18 Depth=1
	global_load_ushort v17, v[18:19], off offset:6
	s_waitcnt vmcnt(0)
	v_fma_mix_f32 v16, v97, v17, v16 op_sel_hi:[0,1,0]
	s_branch .LBB22_17
.LBB22_66:
	s_cmp_eq_u64 s[44:45], 0
	s_cselect_b64 s[4:5], -1, 0
	s_cmp_lg_u32 s3, 0
	s_cselect_b64 s[6:7], -1, 0
	s_or_b64 s[4:5], s[6:7], s[4:5]
	s_or_b64 s[4:5], s[16:17], s[4:5]
	s_xor_b64 s[4:5], s[4:5], -1
	s_and_saveexec_b64 s[8:9], s[4:5]
	s_cbranch_execz .LBB22_68
; %bb.67:
	scratch_load_dwordx4 v[0:3], v99, off
	scratch_load_dwordx4 v[4:7], v99, off offset:16
	s_ashr_i32 s21, s20, 31
	s_lshl_b64 s[4:5], s[20:21], 2
	s_add_u32 s4, s44, s4
	s_addc_u32 s5, s45, s5
	s_load_dword s4, s[4:5], 0x0
	v_cmp_eq_u32_e32 vcc, 1, v93
	s_mov_b32 s2, 0x3fb8aa3b
	s_mov_b32 s10, 0xc2ce8ed0
	v_cndmask_b32_e32 v8, v34, v35, vcc
	v_max_f32_e32 v10, v8, v8
	s_waitcnt lgkmcnt(0)
	v_max_f32_e64 v12, s4, s4
	v_max_f32_e32 v10, v12, v10
	v_sub_f32_e32 v8, v8, v10
	v_sub_f32_e32 v12, s4, v10
	v_mul_f32_e32 v13, 0x3fb8aa3b, v8
	v_mul_f32_e32 v14, 0x3fb8aa3b, v12
	v_fma_f32 v15, v8, s2, -v13
	v_rndne_f32_e32 v16, v13
	v_fma_f32 v17, v12, s2, -v14
	v_rndne_f32_e32 v18, v14
	v_fmac_f32_e32 v15, 0x32a5705f, v8
	v_sub_f32_e32 v13, v13, v16
	v_fmac_f32_e32 v17, 0x32a5705f, v12
	v_sub_f32_e32 v14, v14, v18
	v_add_f32_e32 v13, v13, v15
	v_cvt_i32_f32_e32 v16, v16
	v_add_f32_e32 v14, v14, v17
	v_exp_f32_e32 v13, v13
	v_cvt_i32_f32_e32 v18, v18
	v_exp_f32_e32 v14, v14
	v_cmp_eq_u32_e64 s[4:5], 0, v93
	v_cndmask_b32_e32 v35, v35, v10, vcc
	v_cmp_ngt_f32_e64 s[6:7], s10, v8
	v_cndmask_b32_e64 v34, v34, v10, s[4:5]
	v_ldexp_f32 v10, v13, v16
	s_mov_b32 s11, 0x42b17218
	v_ldexp_f32 v13, v14, v18
	v_cndmask_b32_e64 v10, 0, v10, s[6:7]
	v_cmp_ngt_f32_e64 s[6:7], s10, v12
	v_mov_b32_e32 v9, 0x7f800000
	v_cndmask_b32_e32 v11, v32, v33, vcc
	v_cndmask_b32_e64 v13, 0, v13, s[6:7]
	v_cmp_nlt_f32_e64 s[6:7], s11, v8
	s_nop 1
	v_cndmask_b32_e64 v8, v9, v10, s[6:7]
	v_cmp_nlt_f32_e64 s[6:7], s11, v12
	v_cvt_f16_f32_e32 v10, v8
	s_waitcnt vmcnt(1)
	v_pk_mul_f16 v0, v10, v0 op_sel_hi:[0,1]
	v_cndmask_b32_e64 v9, v9, v13, s[6:7]
	v_cmp_eq_u32_e64 s[6:7], 0, v92
	v_pk_mul_f16 v1, v10, v1 op_sel_hi:[0,1]
	v_pk_mul_f16 v2, v10, v2 op_sel_hi:[0,1]
	v_cndmask_b32_e64 v9, 0, v9, s[6:7]
	v_fmac_f32_e32 v9, v11, v8
	v_cndmask_b32_e32 v33, v33, v9, vcc
	v_pk_mul_f16 v3, v10, v3 op_sel_hi:[0,1]
	v_cndmask_b32_e64 v32, v32, v9, s[4:5]
	s_waitcnt vmcnt(0)
	v_pk_mul_f16 v4, v10, v4 op_sel_hi:[0,1]
	v_pk_mul_f16 v5, v10, v5 op_sel_hi:[0,1]
	;; [unrolled: 1-line block ×4, first 2 shown]
	scratch_store_dwordx4 v99, v[0:3], off
	scratch_store_dwordx4 v99, v[4:7], off offset:16
.LBB22_68:
	s_or_b64 exec, exec, s[8:9]
	v_cmp_eq_u32_e32 vcc, 0, v93
	s_and_saveexec_b64 s[4:5], vcc
	s_cbranch_execz .LBB22_70
; %bb.69:
	v_mov_b32_e32 v0, 0xfeffffff
	v_add_u32_e32 v2, 0x1000, v96
	v_mov_b32_e32 v1, 0
	ds_write2_b32 v2, v0, v0 offset1:32
	ds_write2_b32 v2, v1, v1 offset0:64 offset1:96
.LBB22_70:
	s_or_b64 exec, exec, s[4:5]
	v_cmp_eq_u32_e64 s[4:5], 0, v92
	s_waitcnt lgkmcnt(0)
	s_barrier
	s_and_saveexec_b64 s[6:7], s[4:5]
	s_cbranch_execz .LBB22_72
; %bb.71:
	v_lshlrev_b32_e32 v0, 2, v93
	v_add_u32_e32 v0, 0x1000, v0
	ds_write2_b32 v0, v34, v35 offset1:32
.LBB22_72:
	s_or_b64 exec, exec, s[6:7]
	s_cmp_lt_i32 s22, s18
	s_waitcnt lgkmcnt(0)
	s_barrier
	s_cbranch_scc1 .LBB22_74
; %bb.73:
	s_add_u32 s6, s0, 0xd0
	s_addc_u32 s7, s1, 0
	s_mul_i32 s2, s33, s18
	s_cbranch_execz .LBB22_75
	s_branch .LBB22_83
.LBB22_74:
                                        ; implicit-def: $sgpr6_sgpr7
	s_mul_i32 s2, s33, s18
.LBB22_75:
	v_mbcnt_hi_u32_b32 v0, -1, v98
	v_and_b32_e32 v1, 0x60, v0
	ds_read_b32 v3, v96 offset:4096
	scratch_load_dwordx4 v[10:13], off, off
	scratch_load_dwordx4 v[14:17], off, off offset:16
	v_add_u32_e32 v1, 32, v1
	v_xor_b32_e32 v2, 16, v0
	v_cmp_lt_i32_e32 vcc, v2, v1
	v_xor_b32_e32 v4, 8, v0
	v_xor_b32_e32 v5, 4, v0
	v_cndmask_b32_e32 v2, v0, v2, vcc
	v_lshlrev_b32_e32 v8, 2, v2
	s_waitcnt lgkmcnt(0)
	ds_bpermute_b32 v2, v8, v3
	v_cmp_lt_i32_e32 vcc, v4, v1
	v_max_f32_e32 v3, v3, v3
	v_xor_b32_e32 v6, 2, v0
	v_cndmask_b32_e32 v4, v0, v4, vcc
	s_waitcnt lgkmcnt(0)
	v_max_f32_e32 v2, v2, v2
	v_lshlrev_b32_e32 v4, 2, v4
	v_max_f32_e32 v2, v3, v2
	ds_bpermute_b32 v3, v4, v2
	v_cmp_lt_i32_e32 vcc, v5, v1
	v_xor_b32_e32 v7, 1, v0
	s_mov_b32 s6, 0x3fb8aa3b
	v_cndmask_b32_e32 v5, v0, v5, vcc
	s_waitcnt lgkmcnt(0)
	v_max_f32_e32 v3, v3, v3
	v_lshlrev_b32_e32 v5, 2, v5
	v_max_f32_e32 v2, v2, v3
	ds_bpermute_b32 v3, v5, v2
	v_cmp_lt_i32_e32 vcc, v6, v1
	s_mov_b32 s7, 0x42b17218
	s_load_dword s10, s[0:1], 0xd4
	v_cndmask_b32_e32 v6, v0, v6, vcc
	s_waitcnt lgkmcnt(0)
	v_max_f32_e32 v3, v3, v3
	v_lshlrev_b32_e32 v6, 2, v6
	v_max_f32_e32 v2, v2, v3
	ds_bpermute_b32 v3, v6, v2
	v_cmp_lt_i32_e32 vcc, v7, v1
	v_lshlrev_b32_e32 v18, 4, v92
	s_nop 0
	v_cndmask_b32_e32 v0, v0, v7, vcc
	v_lshlrev_b32_e32 v7, 2, v0
	s_waitcnt lgkmcnt(0)
	v_max_f32_e32 v0, v3, v3
	v_max_f32_e32 v0, v2, v0
	ds_bpermute_b32 v1, v7, v0
	s_waitcnt lgkmcnt(0)
	v_max_f32_e32 v1, v1, v1
	v_max_f32_e32 v0, v0, v1
	v_sub_f32_e32 v1, v34, v0
	v_mul_f32_e32 v2, 0x3fb8aa3b, v1
	v_fma_f32 v3, v1, s6, -v2
	v_rndne_f32_e32 v9, v2
	v_fmamk_f32 v3, v1, 0x32a5705f, v3
	v_sub_f32_e32 v2, v2, v9
	v_add_f32_e32 v2, v2, v3
	v_cvt_i32_f32_e32 v9, v9
	v_exp_f32_e32 v2, v2
	s_mov_b32 s6, 0xc2ce8ed0
	v_cmp_ngt_f32_e32 vcc, s6, v1
	v_mov_b32_e32 v3, 0x7f800000
	v_ldexp_f32 v2, v2, v9
	v_cndmask_b32_e32 v2, 0, v2, vcc
	v_cmp_nlt_f32_e32 vcc, s7, v1
	s_add_u32 s6, s0, 0xd0
	s_movk_i32 s0, 0x70
	v_cndmask_b32_e32 v1, v3, v2, vcc
	v_mul_f32_e32 v2, v32, v1
	ds_bpermute_b32 v2, v8, v2
	v_lshlrev_b32_e32 v3, 5, v92
	v_and_b32_e32 v3, 0xf00, v3
	v_cvt_f16_f32_e32 v20, v1
	s_addc_u32 s7, s1, 0
	s_waitcnt lgkmcnt(0)
	v_fmac_f32_e32 v2, v32, v1
	ds_bpermute_b32 v9, v4, v2
	v_lshl_add_u32 v1, v93, 10, v3
	s_waitcnt lgkmcnt(0)
	v_add_f32_e32 v2, v2, v9
	ds_bpermute_b32 v19, v5, v2
	v_and_or_b32 v9, v18, s0, v1
	s_waitcnt vmcnt(1)
	v_pk_mul_f16 v10, v20, v10 op_sel_hi:[0,1]
	v_pk_mul_f16 v11, v20, v11 op_sel_hi:[0,1]
	;; [unrolled: 1-line block ×3, first 2 shown]
	s_waitcnt lgkmcnt(0)
	v_add_f32_e32 v1, v2, v19
	ds_bpermute_b32 v2, v6, v1
	v_pk_mul_f16 v13, v20, v13 op_sel_hi:[0,1]
	s_waitcnt vmcnt(0)
	v_pk_mul_f16 v14, v20, v14 op_sel_hi:[0,1]
	v_pk_mul_f16 v15, v20, v15 op_sel_hi:[0,1]
	;; [unrolled: 1-line block ×3, first 2 shown]
	s_waitcnt lgkmcnt(0)
	v_add_f32_e32 v1, v1, v2
	ds_bpermute_b32 v2, v7, v1
	v_pk_mul_f16 v17, v20, v17 op_sel_hi:[0,1]
	scratch_store_dwordx4 off, v[10:13], off
	scratch_store_dwordx4 off, v[14:17], off offset:16
	ds_write_b128 v9, v[10:13]
	ds_write_b128 v9, v[14:17] offset:128
	s_and_saveexec_b64 s[0:1], s[4:5]
	s_cbranch_execz .LBB22_77
; %bb.76:
	s_waitcnt lgkmcnt(2)
	v_add_f32_e32 v1, v1, v2
	v_lshlrev_b32_e32 v2, 2, v93
	ds_write_b32 v2, v1 offset:4352
.LBB22_77:
	s_or_b64 exec, exec, s[0:1]
	s_waitcnt lgkmcnt(0)
	s_barrier
	ds_read_b32 v3, v96 offset:4352
	ds_read_u16 v1, v95
	ds_read_u16 v2, v95 offset:256
	ds_read_u16 v10, v95 offset:512
	;; [unrolled: 1-line block ×6, first 2 shown]
	s_waitcnt lgkmcnt(6)
	v_cvt_f32_f16_e32 v1, v1
	s_waitcnt lgkmcnt(5)
	v_cvt_f32_f16_e32 v2, v2
	;; [unrolled: 2-line block ×4, first 2 shown]
	v_add_f32_e32 v1, 0, v1
	v_add_f32_e32 v1, v1, v2
	s_waitcnt lgkmcnt(2)
	v_cvt_f32_f16_e32 v2, v13
	v_add_f32_e32 v1, v1, v10
	s_waitcnt lgkmcnt(1)
	v_cvt_f32_f16_e32 v10, v14
	;; [unrolled: 3-line block ×3, first 2 shown]
	ds_read_u16 v13, v95 offset:1792
	ds_read_u16 v14, v95 offset:2048
	;; [unrolled: 1-line block ×8, first 2 shown]
	s_waitcnt lgkmcnt(7)
	v_cvt_f32_f16_e32 v13, v13
	v_add_f32_e32 v1, v1, v2
	v_add_f32_e32 v1, v1, v10
	s_waitcnt lgkmcnt(6)
	v_cvt_f32_f16_e32 v2, v14
	v_add_f32_e32 v1, v1, v12
	s_waitcnt lgkmcnt(5)
	v_cvt_f32_f16_e32 v12, v15
	ds_bpermute_b32 v11, v8, v3
	v_add_f32_e32 v1, v1, v13
	s_waitcnt lgkmcnt(5)
	v_cvt_f32_f16_e32 v13, v16
	s_waitcnt lgkmcnt(4)
	v_cvt_f32_f16_e32 v10, v17
	v_add_f32_e32 v1, v1, v2
	v_add_f32_e32 v1, v1, v12
	;; [unrolled: 1-line block ×3, first 2 shown]
	s_waitcnt lgkmcnt(0)
	v_pk_add_f32 v[2:3], v[2:3], v[10:11]
	ds_bpermute_b32 v11, v4, v3
	v_cvt_f32_f16_e32 v10, v18
	ds_read_u16 v1, v95 offset:3840
	s_cmp_eq_u32 s10, 1
	s_waitcnt lgkmcnt(1)
	v_pk_add_f32 v[2:3], v[2:3], v[10:11]
	ds_bpermute_b32 v11, v5, v3
	v_cvt_f32_f16_e32 v10, v19
	s_waitcnt lgkmcnt(0)
	v_pk_add_f32 v[2:3], v[2:3], v[10:11]
	ds_bpermute_b32 v11, v6, v3
	v_cvt_f32_f16_e32 v10, v20
	;; [unrolled: 4-line block ×3, first 2 shown]
	s_waitcnt lgkmcnt(0)
	v_pk_add_f32 v[2:3], v[2:3], v[10:11]
	s_nop 0
	v_div_scale_f32 v1, s[0:1], v3, v3, v2
	v_rcp_f32_e32 v10, v1
	s_cselect_b64 s[0:1], -1, 0
	s_add_i32 s8, s2, s22
	s_mul_i32 s11, s8, s19
	v_fma_f32 v11, -v1, v10, 1.0
	v_fmac_f32_e32 v10, v11, v10
	v_div_scale_f32 v11, vcc, v2, v3, v2
	v_mul_f32_e32 v12, v11, v10
	v_fma_f32 v13, -v1, v12, v11
	v_fmac_f32_e32 v12, v13, v10
	v_fma_f32 v1, -v1, v12, v11
	s_add_i32 s11, s11, s20
	v_div_fmas_f32 v1, v1, v10, v12
	s_mul_i32 s8, s10, s11
	v_div_fixup_f32 v10, v1, v3, v2
	s_add_i32 s8, s8, s3
	v_cndmask_b32_e64 v2, v2, v10, s[0:1]
	v_lshl_or_b32 v10, s8, 7, v94
	v_mov_b32_e32 v11, 0
	s_or_b32 s8, s22, 1
	v_lshl_add_u64 v[10:11], v[10:11], 2, s[48:49]
	s_cmp_ge_i32 s8, s18
	global_store_dword v[10:11], v2, off
	s_barrier
	s_cbranch_scc1 .LBB22_81
; %bb.78:
	v_or_b32_e32 v1, 0x1000, v96
	ds_read_b32 v1, v1 offset:128
	scratch_load_dwordx4 v[12:15], off, off offset:32
	scratch_load_dwordx4 v[16:19], off, off offset:48
	s_mov_b32 s8, 0x3fb8aa3b
	s_mov_b32 s9, 0x42b17218
	s_waitcnt lgkmcnt(0)
	ds_bpermute_b32 v2, v8, v1
	v_max_f32_e32 v1, v1, v1
	v_or_b32_e32 v21, 0x80, v9
	s_waitcnt lgkmcnt(0)
	v_max_f32_e32 v2, v2, v2
	v_max_f32_e32 v1, v1, v2
	ds_bpermute_b32 v2, v4, v1
	s_waitcnt lgkmcnt(0)
	v_max_f32_e32 v2, v2, v2
	v_max_f32_e32 v1, v1, v2
	ds_bpermute_b32 v2, v5, v1
	;; [unrolled: 4-line block ×4, first 2 shown]
	s_waitcnt lgkmcnt(0)
	v_max_f32_e32 v2, v2, v2
	v_max_f32_e32 v1, v1, v2
	v_sub_f32_e32 v2, v35, v1
	v_mul_f32_e32 v10, 0x3fb8aa3b, v2
	v_fma_f32 v11, v2, s8, -v10
	v_rndne_f32_e32 v20, v10
	v_fmamk_f32 v11, v2, 0x32a5705f, v11
	v_sub_f32_e32 v10, v10, v20
	v_add_f32_e32 v10, v10, v11
	v_cvt_i32_f32_e32 v20, v20
	v_exp_f32_e32 v10, v10
	s_mov_b32 s8, 0xc2ce8ed0
	v_cmp_ngt_f32_e32 vcc, s8, v2
	v_mov_b32_e32 v11, 0x7f800000
	v_ldexp_f32 v10, v10, v20
	v_cndmask_b32_e32 v10, 0, v10, vcc
	v_cmp_nlt_f32_e32 vcc, s9, v2
	s_nop 1
	v_cndmask_b32_e32 v2, v11, v10, vcc
	v_mul_f32_e32 v10, v33, v2
	ds_bpermute_b32 v10, v8, v10
	v_cvt_f16_f32_e32 v22, v2
	s_waitcnt lgkmcnt(0)
	v_fmac_f32_e32 v10, v33, v2
	ds_bpermute_b32 v11, v4, v10
	v_mov_b32_e32 v2, v3
	s_waitcnt lgkmcnt(0)
	v_add_f32_e32 v10, v10, v11
	ds_bpermute_b32 v11, v5, v10
	s_waitcnt lgkmcnt(0)
	v_add_f32_e32 v11, v10, v11
	ds_bpermute_b32 v20, v6, v11
	v_add_u32_e32 v10, 0x1100, v96
	s_waitcnt vmcnt(1)
	v_pk_mul_f16 v12, v22, v12 op_sel_hi:[0,1]
	s_waitcnt lgkmcnt(0)
	v_add_f32_e32 v3, v11, v20
	ds_bpermute_b32 v11, v7, v3
	v_pk_mul_f16 v13, v22, v13 op_sel_hi:[0,1]
	v_pk_mul_f16 v14, v22, v14 op_sel_hi:[0,1]
	;; [unrolled: 1-line block ×3, first 2 shown]
	s_waitcnt vmcnt(0)
	v_pk_mul_f16 v16, v22, v16 op_sel_hi:[0,1]
	v_pk_mul_f16 v17, v22, v17 op_sel_hi:[0,1]
	;; [unrolled: 1-line block ×4, first 2 shown]
	scratch_store_dwordx4 off, v[12:15], off offset:32
	scratch_store_dwordx4 off, v[16:19], off offset:48
	ds_write_b128 v9, v[12:15]
	ds_write_b128 v21, v[16:19]
	s_and_saveexec_b64 s[8:9], s[4:5]
	s_cbranch_execz .LBB22_80
; %bb.79:
	v_lshlrev_b32_e32 v9, 2, v93
	s_waitcnt lgkmcnt(2)
	v_add_f32_e32 v3, v3, v11
	ds_write_b32 v9, v3 offset:4480
.LBB22_80:
	s_or_b64 exec, exec, s[8:9]
	s_waitcnt lgkmcnt(0)
	s_barrier
	ds_read_b32 v9, v10 offset:128
	ds_read_u16 v3, v95
	ds_read_u16 v10, v95 offset:256
	ds_read_u16 v12, v95 offset:512
	;; [unrolled: 1-line block ×6, first 2 shown]
	s_waitcnt lgkmcnt(6)
	v_cvt_f32_f16_e32 v3, v3
	ds_bpermute_b32 v11, v8, v9
	s_waitcnt lgkmcnt(6)
	v_cvt_f32_f16_e32 v8, v10
	s_waitcnt lgkmcnt(5)
	v_cvt_f32_f16_e32 v10, v12
	;; [unrolled: 2-line block ×3, first 2 shown]
	v_add_f32_e32 v3, 0, v3
	v_add_f32_e32 v3, v3, v8
	s_waitcnt lgkmcnt(3)
	v_cvt_f32_f16_e32 v8, v14
	v_add_f32_e32 v3, v3, v10
	s_waitcnt lgkmcnt(2)
	v_cvt_f32_f16_e32 v10, v15
	;; [unrolled: 3-line block ×3, first 2 shown]
	ds_read_u16 v13, v95 offset:1792
	ds_read_u16 v14, v95 offset:2048
	;; [unrolled: 1-line block ×8, first 2 shown]
	s_waitcnt lgkmcnt(7)
	v_cvt_f32_f16_e32 v13, v13
	v_add_f32_e32 v3, v3, v8
	v_add_f32_e32 v3, v3, v10
	s_waitcnt lgkmcnt(6)
	v_cvt_f32_f16_e32 v8, v14
	v_add_f32_e32 v3, v3, v12
	s_waitcnt lgkmcnt(5)
	v_cvt_f32_f16_e32 v12, v15
	;; [unrolled: 3-line block ×3, first 2 shown]
	s_waitcnt lgkmcnt(3)
	v_cvt_f32_f16_e32 v10, v17
	v_add_f32_e32 v3, v3, v8
	v_add_f32_e32 v3, v3, v12
	;; [unrolled: 1-line block ×3, first 2 shown]
	v_pk_add_f32 v[8:9], v[8:9], v[10:11]
	ds_bpermute_b32 v11, v4, v9
	s_waitcnt lgkmcnt(3)
	v_cvt_f32_f16_e32 v10, v18
	s_waitcnt lgkmcnt(2)
	v_cvt_f32_f16_e32 v4, v19
	ds_read_u16 v3, v95 offset:3840
	s_add_i32 s11, s11, s19
	s_waitcnt lgkmcnt(1)
	v_pk_add_f32 v[8:9], v[8:9], v[10:11]
	ds_bpermute_b32 v5, v5, v9
	s_mul_i32 s4, s10, s11
	s_add_i32 s8, s4, s3
	s_waitcnt lgkmcnt(0)
	v_pk_add_f32 v[4:5], v[8:9], v[4:5]
	ds_bpermute_b32 v9, v6, v5
	v_cvt_f32_f16_e32 v8, v20
	v_cvt_f32_f16_e32 v6, v3
	s_waitcnt lgkmcnt(0)
	v_pk_add_f32 v[4:5], v[4:5], v[8:9]
	ds_bpermute_b32 v7, v7, v5
	s_waitcnt lgkmcnt(0)
	v_pk_add_f32 v[32:33], v[4:5], v[6:7]
	s_nop 0
	v_div_scale_f32 v3, s[4:5], v33, v33, v32
	v_rcp_f32_e32 v6, v3
	v_lshl_or_b32 v4, s8, 7, v94
	v_mov_b32_e32 v5, 0
	v_lshl_add_u64 v[4:5], v[4:5], 2, s[48:49]
	v_fma_f32 v7, -v3, v6, 1.0
	v_fmac_f32_e32 v6, v7, v6
	v_div_scale_f32 v7, vcc, v32, v33, v32
	v_mul_f32_e32 v8, v7, v6
	v_fma_f32 v9, -v3, v8, v7
	v_fmac_f32_e32 v8, v9, v6
	v_fma_f32 v3, -v3, v8, v7
	v_div_fmas_f32 v3, v3, v6, v8
	v_div_fixup_f32 v3, v3, v33, v32
	v_cndmask_b32_e64 v3, v32, v3, s[0:1]
	global_store_dword v[4:5], v3, off
	v_mov_b32_e32 v3, v2
	s_branch .LBB22_82
.LBB22_81:
	v_mov_b32_e32 v1, v35
.LBB22_82:
	v_mov_b32_e32 v32, v3
	v_mov_b64_e32 v[34:35], v[0:1]
.LBB22_83:
	s_load_dword s0, s[6:7], 0x4
	v_cmp_gt_u32_e32 vcc, 2, v94
	v_or_b32_e32 v0, s22, v92
	s_waitcnt lgkmcnt(0)
	s_cmp_lg_u32 s0, 1
	s_cselect_b64 s[4:5], -1, 0
	s_and_b64 s[4:5], vcc, s[4:5]
	v_cmp_gt_i32_e32 vcc, s18, v0
	s_and_b64 s[4:5], s[4:5], vcc
	s_and_saveexec_b64 s[6:7], s[4:5]
	s_cbranch_execz .LBB22_85
; %bb.84:
	v_add_u32_e32 v0, s2, v0
	v_mul_lo_u32 v0, v0, s19
	v_add_u32_e32 v0, s20, v0
	v_mul_lo_u32 v0, s0, v0
	v_mov_b32_e32 v2, s50
	v_mov_b32_e32 v3, s51
	v_cmp_eq_u32_e32 vcc, 1, v94
	v_add_u32_e32 v0, s3, v0
	v_mov_b32_e32 v1, 0
	v_cndmask_b32_e32 v4, v34, v35, vcc
	v_cndmask_b32_e32 v5, v32, v33, vcc
	v_lshl_add_u64 v[0:1], v[0:1], 3, v[2:3]
	global_store_dwordx2 v[0:1], v[4:5], off
.LBB22_85:
	s_endpgm
	.section	.rodata,"a",@progbits
	.p2align	6, 0x0
	.amdhsa_kernel _ZL18flash_attn_ext_vecILi128ELi2EL9ggml_type2ELS0_30ELb1EEvPKcS2_S2_S2_S2_PKiPfP15HIP_vector_typeIfLj2EEffffjfiS6_IjLj3EEiiiiiiiiiiiliiliiiiil
		.amdhsa_group_segment_fixed_size 4608
		.amdhsa_private_segment_fixed_size 80
		.amdhsa_kernarg_size 464
		.amdhsa_user_sgpr_count 2
		.amdhsa_user_sgpr_dispatch_ptr 0
		.amdhsa_user_sgpr_queue_ptr 0
		.amdhsa_user_sgpr_kernarg_segment_ptr 1
		.amdhsa_user_sgpr_dispatch_id 0
		.amdhsa_user_sgpr_kernarg_preload_length 0
		.amdhsa_user_sgpr_kernarg_preload_offset 0
		.amdhsa_user_sgpr_private_segment_size 0
		.amdhsa_uses_dynamic_stack 0
		.amdhsa_enable_private_segment 1
		.amdhsa_system_sgpr_workgroup_id_x 1
		.amdhsa_system_sgpr_workgroup_id_y 1
		.amdhsa_system_sgpr_workgroup_id_z 1
		.amdhsa_system_sgpr_workgroup_info 0
		.amdhsa_system_vgpr_workitem_id 1
		.amdhsa_next_free_vgpr 125
		.amdhsa_next_free_sgpr 73
		.amdhsa_accum_offset 128
		.amdhsa_reserve_vcc 1
		.amdhsa_float_round_mode_32 0
		.amdhsa_float_round_mode_16_64 0
		.amdhsa_float_denorm_mode_32 3
		.amdhsa_float_denorm_mode_16_64 3
		.amdhsa_dx10_clamp 1
		.amdhsa_ieee_mode 1
		.amdhsa_fp16_overflow 0
		.amdhsa_tg_split 0
		.amdhsa_exception_fp_ieee_invalid_op 0
		.amdhsa_exception_fp_denorm_src 0
		.amdhsa_exception_fp_ieee_div_zero 0
		.amdhsa_exception_fp_ieee_overflow 0
		.amdhsa_exception_fp_ieee_underflow 0
		.amdhsa_exception_fp_ieee_inexact 0
		.amdhsa_exception_int_div_zero 0
	.end_amdhsa_kernel
	.section	.text._ZL18flash_attn_ext_vecILi128ELi2EL9ggml_type2ELS0_30ELb1EEvPKcS2_S2_S2_S2_PKiPfP15HIP_vector_typeIfLj2EEffffjfiS6_IjLj3EEiiiiiiiiiiiliiliiiiil,"axG",@progbits,_ZL18flash_attn_ext_vecILi128ELi2EL9ggml_type2ELS0_30ELb1EEvPKcS2_S2_S2_S2_PKiPfP15HIP_vector_typeIfLj2EEffffjfiS6_IjLj3EEiiiiiiiiiiiliiliiiiil,comdat
.Lfunc_end22:
	.size	_ZL18flash_attn_ext_vecILi128ELi2EL9ggml_type2ELS0_30ELb1EEvPKcS2_S2_S2_S2_PKiPfP15HIP_vector_typeIfLj2EEffffjfiS6_IjLj3EEiiiiiiiiiiiliiliiiiil, .Lfunc_end22-_ZL18flash_attn_ext_vecILi128ELi2EL9ggml_type2ELS0_30ELb1EEvPKcS2_S2_S2_S2_PKiPfP15HIP_vector_typeIfLj2EEffffjfiS6_IjLj3EEiiiiiiiiiiiliiliiiiil
                                        ; -- End function
	.section	.AMDGPU.csdata,"",@progbits
; Kernel info:
; codeLenInByte = 16220
; NumSgprs: 79
; NumVgprs: 125
; NumAgprs: 0
; TotalNumVgprs: 125
; ScratchSize: 80
; MemoryBound: 0
; FloatMode: 240
; IeeeMode: 1
; LDSByteSize: 4608 bytes/workgroup (compile time only)
; SGPRBlocks: 9
; VGPRBlocks: 15
; NumSGPRsForWavesPerEU: 79
; NumVGPRsForWavesPerEU: 125
; AccumOffset: 128
; Occupancy: 4
; WaveLimiterHint : 0
; COMPUTE_PGM_RSRC2:SCRATCH_EN: 1
; COMPUTE_PGM_RSRC2:USER_SGPR: 2
; COMPUTE_PGM_RSRC2:TRAP_HANDLER: 0
; COMPUTE_PGM_RSRC2:TGID_X_EN: 1
; COMPUTE_PGM_RSRC2:TGID_Y_EN: 1
; COMPUTE_PGM_RSRC2:TGID_Z_EN: 1
; COMPUTE_PGM_RSRC2:TIDIG_COMP_CNT: 1
; COMPUTE_PGM_RSRC3_GFX90A:ACCUM_OFFSET: 31
; COMPUTE_PGM_RSRC3_GFX90A:TG_SPLIT: 0
	.section	.text._ZL18flash_attn_ext_vecILi256ELi1EL9ggml_type2ELS0_30ELb0EEvPKcS2_S2_S2_S2_PKiPfP15HIP_vector_typeIfLj2EEffffjfiS6_IjLj3EEiiiiiiiiiiiliiliiiiil,"axG",@progbits,_ZL18flash_attn_ext_vecILi256ELi1EL9ggml_type2ELS0_30ELb0EEvPKcS2_S2_S2_S2_PKiPfP15HIP_vector_typeIfLj2EEffffjfiS6_IjLj3EEiiiiiiiiiiiliiliiiiil,comdat
	.globl	_ZL18flash_attn_ext_vecILi256ELi1EL9ggml_type2ELS0_30ELb0EEvPKcS2_S2_S2_S2_PKiPfP15HIP_vector_typeIfLj2EEffffjfiS6_IjLj3EEiiiiiiiiiiiliiliiiiil ; -- Begin function _ZL18flash_attn_ext_vecILi256ELi1EL9ggml_type2ELS0_30ELb0EEvPKcS2_S2_S2_S2_PKiPfP15HIP_vector_typeIfLj2EEffffjfiS6_IjLj3EEiiiiiiiiiiiliiliiiiil
	.p2align	8
	.type	_ZL18flash_attn_ext_vecILi256ELi1EL9ggml_type2ELS0_30ELb0EEvPKcS2_S2_S2_S2_PKiPfP15HIP_vector_typeIfLj2EEffffjfiS6_IjLj3EEiiiiiiiiiiiliiliiiiil,@function
_ZL18flash_attn_ext_vecILi256ELi1EL9ggml_type2ELS0_30ELb0EEvPKcS2_S2_S2_S2_PKiPfP15HIP_vector_typeIfLj2EEffffjfiS6_IjLj3EEiiiiiiiiiiiliiliiiiil: ; @_ZL18flash_attn_ext_vecILi256ELi1EL9ggml_type2ELS0_30ELb0EEvPKcS2_S2_S2_S2_PKiPfP15HIP_vector_typeIfLj2EEffffjfiS6_IjLj3EEiiiiiiiiiiiliiliiiiil
; %bb.0:
	s_load_dwordx2 s[34:35], s[0:1], 0x64
	s_load_dwordx2 s[42:43], s[0:1], 0x80
	;; [unrolled: 1-line block ×3, first 2 shown]
	s_load_dwordx4 s[12:15], s[0:1], 0x40
	v_mov_b32_e32 v66, 1.0
	s_waitcnt lgkmcnt(0)
	v_cvt_f32_u32_e32 v1, s35
	s_sub_i32 s5, 0, s35
	v_rcp_iflag_f32_e32 v1, v1
	s_nop 0
	v_mul_f32_e32 v1, 0x4f7ffffe, v1
	v_cvt_u32_f32_e32 v1, v1
	s_nop 0
	v_readfirstlane_b32 s6, v1
	s_mul_i32 s5, s5, s6
	s_mul_hi_u32 s5, s6, s5
	s_add_i32 s6, s6, s5
	s_mul_hi_u32 s5, s4, s6
	s_mul_i32 s6, s5, s35
	s_sub_i32 s6, s4, s6
	s_add_i32 s7, s5, 1
	s_sub_i32 s8, s6, s35
	s_cmp_ge_u32 s6, s35
	s_cselect_b32 s5, s7, s5
	s_cselect_b32 s6, s8, s6
	s_add_i32 s7, s5, 1
	s_cmp_ge_u32 s6, s35
	s_cselect_b32 s33, s7, s5
	s_load_dword s5, s[0:1], 0x50
	s_abs_i32 s6, s43
	v_cvt_f32_u32_e32 v1, s6
	s_mul_i32 s9, s33, s35
	s_sub_i32 s16, 0, s6
	s_sub_i32 s40, s4, s9
	v_rcp_iflag_f32_e32 v1, v1
	s_abs_i32 s8, s35
	s_xor_b32 s7, s35, s43
	s_ashr_i32 s7, s7, 31
	v_mul_f32_e32 v1, 0x4f7ffffe, v1
	v_cvt_u32_f32_e32 v1, v1
	s_mov_b32 s36, s12
	s_mov_b32 s37, s13
	v_readfirstlane_b32 s4, v1
	s_mul_i32 s16, s16, s4
	s_mul_hi_u32 s9, s4, s16
	s_add_i32 s4, s4, s9
	s_mul_hi_u32 s4, s8, s4
	s_mul_i32 s9, s4, s6
	s_sub_i32 s8, s8, s9
	s_add_i32 s16, s4, 1
	s_sub_i32 s9, s8, s6
	s_cmp_ge_u32 s8, s6
	s_cselect_b32 s4, s16, s4
	s_cselect_b32 s8, s9, s8
	s_add_i32 s9, s4, 1
	s_cmp_ge_u32 s8, s6
	s_cselect_b32 s4, s9, s4
	s_xor_b32 s4, s4, s7
	s_sub_i32 s38, s4, s7
	s_abs_i32 s44, s38
	v_cvt_f32_u32_e32 v1, s44
	s_abs_i32 s10, s10
	v_cvt_f32_u32_e32 v2, s10
	s_sub_i32 s6, 0, s44
	v_rcp_iflag_f32_e32 v1, v1
	s_sub_i32 s4, 0, s10
	v_rcp_iflag_f32_e32 v2, v2
	s_abs_i32 s45, s40
	v_mul_f32_e32 v1, 0x4f7ffffe, v1
	v_cvt_u32_f32_e32 v1, v1
	v_mul_f32_e32 v2, 0x4f7ffffe, v2
	v_cvt_u32_f32_e32 v2, v2
	s_abs_i32 s43, s33
	v_readfirstlane_b32 s16, v1
	s_mul_i32 s6, s6, s16
	v_readfirstlane_b32 s17, v2
	s_mul_hi_u32 s6, s16, s6
	s_mul_i32 s4, s4, s17
	s_add_i32 s16, s16, s6
	s_mul_hi_u32 s4, s17, s4
	v_cmp_le_f32_e64 s[6:7], s13, 0
	s_add_i32 s17, s17, s4
	s_and_b64 vcc, exec, s[6:7]
	s_cbranch_vccnz .LBB23_2
; %bb.1:
	s_waitcnt lgkmcnt(0)
	s_sub_i32 s4, s40, s5
	s_lshl_b32 s4, s4, 1
	s_add_i32 s6, s40, 1
	s_or_b32 s7, s4, 1
	s_cmp_lt_u32 s40, s5
	s_cselect_b64 vcc, -1, 0
	s_and_b64 s[4:5], vcc, exec
	v_mov_b32_e32 v1, s15
	v_mov_b32_e32 v2, s14
	s_cselect_b32 s4, s6, s7
	v_cndmask_b32_e32 v18, v1, v2, vcc
	v_cvt_f32_i32_e32 v1, s4
	v_cmp_neq_f32_e32 vcc, 1.0, v18
	s_mov_b32 s4, 0x3f2aaaab
	s_movk_i32 s6, 0x204
	v_cndmask_b32_e32 v19, 1.0, v1, vcc
	v_cmp_eq_f32_e32 vcc, 0, v19
	s_mov_b32 s8, 0x42b17218
	s_mov_b32 s7, 0x7f800000
	v_cndmask_b32_e64 v20, |v18|, 1.0, vcc
	v_frexp_mant_f32_e32 v1, v20
	v_cmp_gt_f32_e64 s[4:5], s4, v1
	s_brev_b32 s13, -2
	s_nop 0
	v_cndmask_b32_e64 v2, 1.0, 2.0, s[4:5]
	v_mul_f32_e32 v1, v1, v2
	v_add_f32_e32 v2, 1.0, v1
	v_rcp_f32_e32 v10, v2
	v_add_f32_e32 v3, -1.0, v2
	v_sub_f32_e32 v5, v1, v3
	v_add_f32_e32 v3, -1.0, v1
	v_mul_f32_e32 v1, v3, v10
	v_mul_f32_e32 v4, v2, v1
	v_fma_f32 v6, v1, v2, -v4
	v_fmac_f32_e32 v6, v1, v5
	v_add_f32_e32 v2, v4, v6
	v_sub_f32_e32 v5, v3, v2
	v_pk_add_f32 v[8:9], v[2:3], v[4:5] neg_lo:[0,1] neg_hi:[0,1]
	v_mov_b32_e32 v7, v2
	v_pk_add_f32 v[2:3], v[8:9], v[6:7] neg_lo:[0,1] neg_hi:[0,1]
	v_mov_b32_e32 v6, 0x3e91f4c4
	v_add_f32_e32 v2, v2, v3
	v_add_f32_e32 v2, v5, v2
	v_mul_f32_e32 v3, v10, v2
	v_add_f32_e32 v2, v1, v3
	v_sub_f32_e32 v1, v2, v1
	v_sub_f32_e32 v1, v3, v1
	v_mul_f32_e32 v3, v2, v2
	v_fma_f32 v5, v2, v2, -v3
	v_add_f32_e32 v4, v1, v1
	v_fmac_f32_e32 v5, v2, v4
	v_add_f32_e32 v4, v3, v5
	v_fmac_f32_e32 v6, 0x3e76c4e1, v4
	v_fmaak_f32 v6, v4, v6, 0x3ecccdef
	v_sub_f32_e32 v3, v4, v3
	v_sub_f32_e32 v12, v5, v3
	v_mul_f32_e32 v3, v4, v6
	v_fma_f32 v5, v4, v6, -v3
	v_fmac_f32_e32 v5, v12, v6
	v_add_f32_e32 v6, v3, v5
	v_add_f32_e32 v7, 0x3f2aaaaa, v6
	v_sub_f32_e32 v3, v6, v3
	v_sub_f32_e32 v3, v5, v3
	v_add_f32_e32 v5, 0xbf2aaaaa, v7
	v_add_f32_e32 v3, 0x31739010, v3
	v_sub_f32_e32 v5, v6, v5
	v_pk_mul_f32 v[8:9], v[2:3], v[4:5]
	v_pk_add_f32 v[10:11], v[2:3], v[4:5]
	v_fma_f32 v6, v4, v2, -v8
	v_fmac_f32_e32 v6, v4, v1
	v_mov_b32_e32 v9, v11
	v_fmac_f32_e32 v6, v12, v2
	v_pk_add_f32 v[4:5], v[8:9], v[6:7]
	v_ldexp_f32 v1, v1, 1
	v_sub_f32_e32 v3, v4, v8
	v_sub_f32_e32 v3, v6, v3
	;; [unrolled: 1-line block ×3, first 2 shown]
	v_add_f32_e32 v9, v11, v6
	v_mov_b32_e32 v6, v5
	v_pk_mul_f32 v[6:7], v[4:5], v[6:7]
	v_cvt_f64_f32_e32 v[10:11], v20
	v_frexp_exp_i32_f64_e32 v7, v[10:11]
	v_subbrev_co_u32_e64 v7, s[4:5], 0, v7, s[4:5]
	v_cvt_f32_i32_e32 v7, v7
	v_fma_f32 v8, v4, v5, -v6
	v_fmac_f32_e32 v8, v4, v9
	s_mov_b32 s4, 0x3f317218
	v_mul_f32_e32 v4, 0x3f317218, v7
	v_fmac_f32_e32 v8, v3, v5
	v_fma_f32 v3, v7, s4, -v4
	v_fmamk_f32 v10, v7, 0xb102e308, v3
	v_ldexp_f32 v11, v2, 1
	v_add_f32_e32 v5, v6, v8
	v_pk_add_f32 v[2:3], v[4:5], v[10:11]
	v_mov_b32_e32 v12, v5
	v_mov_b32_e32 v13, v3
	;; [unrolled: 1-line block ×3, first 2 shown]
	v_pk_add_f32 v[6:7], v[12:13], v[6:7] neg_lo:[0,1] neg_hi:[0,1]
	v_mov_b32_e32 v9, v5
	v_pk_add_f32 v[6:7], v[8:9], v[6:7] neg_lo:[0,1] neg_hi:[0,1]
	v_mov_b32_e32 v11, v2
	v_add_f32_e32 v1, v1, v6
	v_add_f32_e32 v5, v1, v7
	v_pk_add_f32 v[6:7], v[2:3], v[4:5] neg_lo:[0,1] neg_hi:[0,1]
	v_pk_add_f32 v[8:9], v[2:3], v[4:5]
	v_mov_b32_e32 v12, v6
	v_mov_b32_e32 v13, v9
	v_pk_add_f32 v[12:13], v[10:11], v[12:13]
	v_pk_add_f32 v[6:7], v[10:11], v[6:7] neg_lo:[0,1] neg_hi:[0,1]
	v_mov_b32_e32 v4, v13
	v_pk_add_f32 v[14:15], v[4:5], v[2:3] neg_lo:[0,1] neg_hi:[0,1]
	v_mov_b32_e32 v12, v9
	v_mov_b32_e32 v1, v14
	;; [unrolled: 1-line block ×4, first 2 shown]
	v_pk_add_f32 v[16:17], v[8:9], v[0:1] neg_lo:[0,1] neg_hi:[0,1]
	v_pk_add_f32 v[2:3], v[12:13], v[2:3] neg_lo:[0,1] neg_hi:[0,1]
	v_mov_b32_e32 v10, v5
	v_pk_add_f32 v[2:3], v[10:11], v[2:3] neg_lo:[0,1] neg_hi:[0,1]
	v_mov_b32_e32 v16, v6
	v_pk_add_f32 v[8:9], v[16:17], v[2:3]
	v_mov_b32_e32 v7, v13
	v_mov_b32_e32 v10, v9
	v_pk_add_f32 v[10:11], v[8:9], v[10:11]
	s_nop 0
	v_pk_add_f32 v[4:5], v[4:5], v[10:11]
	v_mov_b32_e32 v3, v10
	v_mov_b32_e32 v9, v4
	v_pk_add_f32 v[12:13], v[8:9], v[6:7] neg_lo:[0,1] neg_hi:[0,1]
	s_nop 0
	v_sub_f32_e32 v1, v8, v12
	v_pk_add_f32 v[2:3], v[2:3], v[12:13] neg_lo:[0,1] neg_hi:[0,1]
	v_sub_f32_e32 v1, v6, v1
	v_add_f32_e32 v1, v2, v1
	v_add_f32_e32 v1, v1, v3
	;; [unrolled: 1-line block ×3, first 2 shown]
	v_sub_f32_e32 v3, v2, v4
	v_sub_f32_e32 v1, v1, v3
	v_mul_f32_e32 v3, v19, v2
	v_fma_f32 v2, v19, v2, -v3
	v_fmac_f32_e32 v2, v19, v1
	v_add_f32_e32 v1, v3, v2
	v_cmp_class_f32_e64 s[4:5], v3, s6
	v_sub_f32_e32 v4, v1, v3
	v_sub_f32_e32 v2, v2, v4
	v_cndmask_b32_e64 v1, v1, v3, s[4:5]
	v_mov_b32_e32 v3, 0x37000000
	v_cmp_eq_f32_e64 s[4:5], s8, v1
	s_nop 1
	v_cndmask_b32_e64 v3, 0, v3, s[4:5]
	v_sub_f32_e32 v4, v1, v3
	s_mov_b32 s4, 0x3fb8aa3b
	v_mul_f32_e32 v5, 0x3fb8aa3b, v4
	v_fma_f32 v6, v4, s4, -v5
	v_rndne_f32_e32 v7, v5
	v_fmamk_f32 v6, v4, 0x32a5705f, v6
	v_sub_f32_e32 v5, v5, v7
	v_add_f32_e32 v5, v5, v6
	v_exp_f32_e32 v5, v5
	v_cvt_i32_f32_e32 v6, v7
	v_cmp_neq_f32_e64 s[4:5], |v1|, s7
	s_nop 1
	v_cndmask_b32_e64 v1, 0, v2, s[4:5]
	s_mov_b32 s4, 0xc2ce8ed0
	v_ldexp_f32 v2, v5, v6
	v_cmp_ngt_f32_e64 s[4:5], s4, v4
	v_add_f32_e32 v1, v3, v1
	v_mov_b32_e32 v3, 0x7f800000
	v_cndmask_b32_e64 v2, 0, v2, s[4:5]
	v_cmp_nlt_f32_e64 s[4:5], s8, v4
	v_trunc_f32_e32 v4, v19
	v_mov_b32_e32 v5, 0x7fc00000
	v_cndmask_b32_e64 v2, v3, v2, s[4:5]
	v_fma_f32 v1, v2, v1, v2
	v_cmp_class_f32_e64 s[4:5], v2, s6
	v_cmp_gt_f32_e64 s[8:9], 0, v19
	s_nop 0
	v_cndmask_b32_e64 v1, v1, v2, s[4:5]
	v_cndmask_b32_e64 v2, v18, 1.0, vcc
	v_cmp_eq_f32_e32 vcc, v4, v19
	v_mul_f32_e32 v4, 0.5, v19
	v_trunc_f32_e32 v6, v4
	v_cmp_neq_f32_e64 s[4:5], v6, v4
	s_and_b64 s[4:5], vcc, s[4:5]
	s_nop 0
	v_cndmask_b32_e64 v4, 1.0, v2, s[4:5]
	v_bfi_b32 v1, s13, v1, v4
	v_cndmask_b32_e32 v4, v5, v1, vcc
	v_cmp_gt_f32_e32 vcc, 0, v2
	s_nop 1
	v_cndmask_b32_e32 v1, v1, v4, vcc
	v_cmp_eq_f32_e32 vcc, s7, v20
	v_cmp_eq_f32_e64 s[6:7], 0, v2
	s_xor_b64 s[8:9], s[8:9], s[6:7]
	v_cndmask_b32_e64 v3, v3, 0, s[8:9]
	v_cndmask_b32_e64 v4, 0, v2, s[4:5]
	v_bfi_b32 v3, s13, v3, v4
	s_or_b64 vcc, vcc, s[6:7]
	v_cndmask_b32_e32 v1, v1, v3, vcc
	v_cmp_o_f32_e32 vcc, v2, v2
	s_nop 1
	v_cndmask_b32_e32 v66, v5, v1, vcc
.LBB23_2:
	s_mul_hi_u32 s47, s45, s16
	s_mul_hi_u32 s46, s43, s17
	s_load_dwordx16 s[16:31], s[0:1], 0x0
	v_bfe_u32 v62, v0, 10, 10
	v_and_b32_e32 v63, 0x3ff, v0
	v_cmp_eq_u32_e64 s[14:15], 0, v62
	v_mbcnt_lo_u32_b32 v64, -1, 0
	v_lshlrev_b32_e32 v16, 4, v63
	s_and_saveexec_b64 s[6:7], s[14:15]
	s_cbranch_execz .LBB23_11
; %bb.3:
	s_load_dwordx4 s[48:51], s[0:1], 0x70
	v_mbcnt_hi_u32_b32 v6, -1, v64
	v_and_b32_e32 v4, 0x60, v6
	v_xor_b32_e32 v5, 4, v6
	v_add_u32_e32 v11, 32, v4
	s_waitcnt lgkmcnt(0)
	s_mul_i32 s4, s33, s50
	s_mul_i32 s8, s2, s48
	s_mul_i32 s5, s40, s49
	s_add_i32 s4, s4, s8
	s_add_i32 s4, s4, s5
	s_ashr_i32 s5, s4, 31
	s_add_u32 s4, s16, s4
	s_addc_u32 s5, s17, s5
	global_load_dwordx4 v[0:3], v16, s[4:5]
	v_xor_b32_e32 v7, 2, v6
	v_cmp_lt_i32_e32 vcc, v5, v11
	v_xor_b32_e32 v8, 1, v6
	s_mov_b32 s16, 0x42fe0000
	v_cndmask_b32_e32 v4, v6, v5, vcc
	v_cmp_lt_i32_e32 vcc, v7, v11
	v_lshlrev_b32_e32 v5, 2, v4
	v_mov_b32_e32 v9, 0
	v_cndmask_b32_e32 v7, v6, v7, vcc
	v_lshlrev_b32_e32 v4, 2, v7
	v_cmp_lt_i32_e32 vcc, v8, v11
	v_mov_b32_e32 v17, 0
	s_mov_b32 s13, s12
	v_cndmask_b32_e32 v6, v6, v8, vcc
	v_lshlrev_b32_e32 v6, 2, v6
	s_waitcnt vmcnt(0)
	v_mul_f32_e32 v10, s12, v0
	v_mov_b32_e32 v0, v3
	v_pk_mul_f32 v[0:1], v[0:1], s[36:37] op_sel_hi:[1,0]
	v_max_f32_e64 v3, |v10|, |v10|
	v_mul_f32_e32 v7, s12, v2
	v_max_f32_e64 v3, v3, |v1|
	v_max3_f32 v3, v3, |v7|, |v0|
	ds_bpermute_b32 v12, v5, v3
	v_add_f32_e32 v13, v1, v10
	v_fmac_f32_e32 v13, s12, v2
	v_add_f32_e32 v2, v0, v13
	ds_bpermute_b32 v13, v5, v2
	s_waitcnt lgkmcnt(1)
	v_max_f32_e32 v12, v12, v12
	v_max_f32_e32 v3, v3, v12
	ds_bpermute_b32 v12, v4, v3
	s_waitcnt lgkmcnt(1)
	v_add_f32_e32 v2, v2, v13
	ds_bpermute_b32 v8, v4, v2
	s_waitcnt lgkmcnt(1)
	v_max_f32_e32 v11, v12, v12
	v_max_f32_e32 v11, v3, v11
	ds_bpermute_b32 v12, v6, v11
	s_waitcnt lgkmcnt(1)
	v_add_f32_e32 v3, v2, v8
	ds_bpermute_b32 v8, v6, v3
	s_waitcnt lgkmcnt(1)
	v_max_f32_e32 v2, v12, v12
	v_max_f32_e32 v2, v11, v2
	v_div_scale_f32 v11, s[8:9], s16, s16, v2
	v_rcp_f32_e32 v12, v11
	v_div_scale_f32 v13, vcc, v2, s16, v2
	v_fma_f32 v14, -v11, v12, 1.0
	v_fmac_f32_e32 v12, v14, v12
	v_mul_f32_e32 v14, v13, v12
	v_fma_f32 v15, -v11, v14, v13
	v_fmac_f32_e32 v14, v15, v12
	v_fma_f32 v11, -v11, v14, v13
	v_div_fmas_f32 v11, v11, v12, v14
	v_div_fixup_f32 v2, v11, s16, v2
	v_cmp_neq_f32_e32 vcc, 0, v2
	s_and_saveexec_b64 s[8:9], vcc
	s_cbranch_execz .LBB23_5
; %bb.4:
	v_div_scale_f32 v9, s[16:17], v2, v2, v10
	v_rcp_f32_e32 v11, v9
	v_div_scale_f32 v12, vcc, v10, v2, v10
	s_brev_b32 s36, -2
	v_fma_f32 v13, -v9, v11, 1.0
	v_fmac_f32_e32 v11, v13, v11
	v_mul_f32_e32 v13, v12, v11
	v_fma_f32 v14, -v9, v13, v12
	v_fmac_f32_e32 v13, v14, v11
	v_fma_f32 v9, -v9, v13, v12
	v_div_fmas_f32 v9, v9, v11, v13
	v_div_fixup_f32 v9, v9, v2, v10
	v_trunc_f32_e32 v10, v9
	v_sub_f32_e32 v11, v9, v10
	v_cmp_ge_f32_e64 s[16:17], |v11|, 0.5
	s_nop 1
	v_cndmask_b32_e64 v11, 0, 1.0, s[16:17]
	v_div_scale_f32 v12, s[16:17], v2, v2, v0
	v_rcp_f32_e32 v13, v12
	v_bfi_b32 v9, s36, v11, v9
	v_add_f32_e32 v9, v10, v9
	v_cvt_i32_f32_e32 v9, v9
	v_fma_f32 v10, -v12, v13, 1.0
	v_fmac_f32_e32 v13, v10, v13
	v_div_scale_f32 v10, vcc, v0, v2, v0
	v_mul_f32_e32 v11, v10, v13
	v_fma_f32 v14, -v12, v11, v10
	v_fmac_f32_e32 v11, v14, v13
	v_div_scale_f32 v14, s[16:17], v2, v2, v1
	v_rcp_f32_e32 v15, v14
	v_fma_f32 v10, -v12, v11, v10
	v_div_fmas_f32 v10, v10, v13, v11
	v_div_fixup_f32 v0, v10, v2, v0
	v_fma_f32 v11, -v14, v15, 1.0
	v_fmac_f32_e32 v15, v11, v15
	v_div_scale_f32 v11, vcc, v1, v2, v1
	v_mul_f32_e32 v12, v11, v15
	v_fma_f32 v13, -v14, v12, v11
	v_fmac_f32_e32 v12, v13, v15
	v_div_scale_f32 v13, s[16:17], v2, v2, v7
	v_rcp_f32_e32 v18, v13
	v_fma_f32 v11, -v14, v12, v11
	v_div_fmas_f32 v11, v11, v15, v12
	v_div_fixup_f32 v1, v11, v2, v1
	v_fma_f32 v12, -v13, v18, 1.0
	v_fmac_f32_e32 v18, v12, v18
	v_div_scale_f32 v12, vcc, v7, v2, v7
	v_mul_f32_e32 v14, v12, v18
	v_fma_f32 v15, -v13, v14, v12
	v_fmac_f32_e32 v14, v15, v18
	v_fma_f32 v12, -v13, v14, v12
	v_div_fmas_f32 v12, v12, v18, v14
	v_div_fixup_f32 v7, v12, v2, v7
	v_trunc_f32_e32 v12, v7
	v_sub_f32_e32 v13, v7, v12
	v_trunc_f32_e32 v10, v1
	v_cmp_ge_f32_e64 s[16:17], |v13|, 0.5
	v_sub_f32_e32 v11, v1, v10
	s_nop 0
	v_cndmask_b32_e64 v13, 0, 1.0, s[16:17]
	v_cmp_ge_f32_e64 s[16:17], |v11|, 0.5
	v_bfi_b32 v7, s36, v13, v7
	v_add_f32_e32 v7, v12, v7
	v_cndmask_b32_e64 v11, 0, 1.0, s[16:17]
	v_bfi_b32 v1, s36, v11, v1
	v_add_f32_e32 v1, v10, v1
	v_trunc_f32_e32 v10, v0
	v_sub_f32_e32 v11, v0, v10
	v_cmp_ge_f32_e64 s[16:17], |v11|, 0.5
	v_cvt_i32_f32_e32 v7, v7
	v_cvt_i32_f32_e32 v1, v1
	v_cndmask_b32_e64 v11, 0, 1.0, s[16:17]
	v_bfi_b32 v0, s36, v11, v0
	v_add_f32_e32 v0, v10, v0
	v_cvt_i32_f32_e32 v0, v0
	v_and_b32_e32 v7, 0xff, v7
	v_lshlrev_b32_e32 v7, 16, v7
	v_mov_b32_e32 v10, 8
	v_lshlrev_b32_sdwa v1, v10, v1 dst_sel:DWORD dst_unused:UNUSED_PAD src0_sel:DWORD src1_sel:BYTE_0
	v_lshl_or_b32 v0, v0, 24, v7
	v_and_b32_e32 v7, 0xff, v9
	v_or3_b32 v9, v0, v1, v7
.LBB23_5:
	s_or_b64 exec, exec, s[8:9]
	v_and_b32_e32 v10, 7, v63
	v_lshl_add_u64 v[0:1], s[4:5], 0, v[16:17]
	v_lshlrev_b32_e32 v7, 2, v63
	v_cmp_eq_u32_e64 s[4:5], 0, v10
	ds_write_b32 v7, v9
	s_and_saveexec_b64 s[8:9], s[4:5]
	s_cbranch_execz .LBB23_7
; %bb.6:
	s_waitcnt lgkmcnt(1)
	v_add_f32_e32 v3, v3, v8
	ds_write_b64 v63, v[2:3] offset:256
.LBB23_7:
	s_or_b64 exec, exec, s[8:9]
	global_load_dwordx4 v[0:3], v[0:1], off offset:512
	s_waitcnt vmcnt(0)
	v_mul_f32_e32 v9, s12, v0
	v_mov_b32_e32 v0, v3
	v_pk_mul_f32 v[0:1], v[0:1], s[12:13]
	v_max_f32_e64 v3, |v9|, |v9|
	s_waitcnt lgkmcnt(1)
	v_mul_f32_e32 v8, s12, v2
	v_max_f32_e64 v3, v3, |v1|
	v_max3_f32 v3, v3, |v8|, |v0|
	ds_bpermute_b32 v10, v5, v3
	v_add_f32_e32 v11, v1, v9
	v_fmac_f32_e32 v11, s12, v2
	v_add_f32_e32 v2, v0, v11
	ds_bpermute_b32 v5, v5, v2
	s_waitcnt lgkmcnt(1)
	v_max_f32_e32 v10, v10, v10
	v_max_f32_e32 v3, v3, v10
	ds_bpermute_b32 v10, v4, v3
	s_mov_b32 s12, 0x42fe0000
	s_waitcnt lgkmcnt(1)
	v_add_f32_e32 v2, v2, v5
	ds_bpermute_b32 v4, v4, v2
	s_waitcnt lgkmcnt(1)
	v_max_f32_e32 v5, v10, v10
	v_max_f32_e32 v5, v3, v5
	ds_bpermute_b32 v10, v6, v5
	s_waitcnt lgkmcnt(1)
	v_add_f32_e32 v3, v2, v4
	ds_bpermute_b32 v4, v6, v3
	s_waitcnt lgkmcnt(1)
	v_max_f32_e32 v2, v10, v10
	v_max_f32_e32 v2, v5, v2
	v_div_scale_f32 v5, s[8:9], s12, s12, v2
	v_rcp_f32_e32 v10, v5
	v_div_scale_f32 v6, vcc, v2, s12, v2
	v_fma_f32 v11, -v5, v10, 1.0
	v_fmac_f32_e32 v10, v11, v10
	v_mul_f32_e32 v11, v6, v10
	v_fma_f32 v12, -v5, v11, v6
	v_fmac_f32_e32 v11, v12, v10
	v_fma_f32 v5, -v5, v11, v6
	v_div_fmas_f32 v5, v5, v10, v11
	v_div_fixup_f32 v2, v5, s12, v2
	v_cmp_neq_f32_e32 vcc, 0, v2
	v_mov_b32_e32 v5, 0
	s_and_saveexec_b64 s[8:9], vcc
	s_cbranch_execz .LBB23_9
; %bb.8:
	v_div_scale_f32 v5, s[12:13], v2, v2, v9
	v_rcp_f32_e32 v6, v5
	v_div_scale_f32 v10, vcc, v9, v2, v9
	s_brev_b32 s16, -2
	v_fma_f32 v11, -v5, v6, 1.0
	v_fmac_f32_e32 v6, v11, v6
	v_mul_f32_e32 v11, v10, v6
	v_fma_f32 v12, -v5, v11, v10
	v_fmac_f32_e32 v11, v12, v6
	v_fma_f32 v5, -v5, v11, v10
	v_div_fmas_f32 v5, v5, v6, v11
	v_div_fixup_f32 v5, v5, v2, v9
	v_trunc_f32_e32 v6, v5
	v_sub_f32_e32 v9, v5, v6
	v_cmp_ge_f32_e64 s[12:13], |v9|, 0.5
	s_nop 1
	v_cndmask_b32_e64 v9, 0, 1.0, s[12:13]
	v_div_scale_f32 v10, s[12:13], v2, v2, v0
	v_rcp_f32_e32 v11, v10
	v_bfi_b32 v5, s16, v9, v5
	v_add_f32_e32 v5, v6, v5
	v_cvt_i32_f32_e32 v5, v5
	v_fma_f32 v6, -v10, v11, 1.0
	v_fmac_f32_e32 v11, v6, v11
	v_div_scale_f32 v6, vcc, v0, v2, v0
	v_mul_f32_e32 v9, v6, v11
	v_fma_f32 v12, -v10, v9, v6
	v_fmac_f32_e32 v9, v12, v11
	v_div_scale_f32 v12, s[12:13], v2, v2, v1
	v_rcp_f32_e32 v13, v12
	v_fma_f32 v6, -v10, v9, v6
	v_div_fmas_f32 v6, v6, v11, v9
	v_div_fixup_f32 v0, v6, v2, v0
	v_fma_f32 v9, -v12, v13, 1.0
	v_fmac_f32_e32 v13, v9, v13
	v_div_scale_f32 v9, vcc, v1, v2, v1
	v_mul_f32_e32 v10, v9, v13
	v_fma_f32 v11, -v12, v10, v9
	v_fmac_f32_e32 v10, v11, v13
	v_div_scale_f32 v11, s[12:13], v2, v2, v8
	v_rcp_f32_e32 v14, v11
	v_fma_f32 v9, -v12, v10, v9
	v_div_fmas_f32 v9, v9, v13, v10
	v_div_fixup_f32 v1, v9, v2, v1
	v_fma_f32 v10, -v11, v14, 1.0
	v_fmac_f32_e32 v14, v10, v14
	v_div_scale_f32 v10, vcc, v8, v2, v8
	v_mul_f32_e32 v12, v10, v14
	v_fma_f32 v13, -v11, v12, v10
	v_fmac_f32_e32 v12, v13, v14
	v_fma_f32 v10, -v11, v12, v10
	v_div_fmas_f32 v10, v10, v14, v12
	v_div_fixup_f32 v8, v10, v2, v8
	v_trunc_f32_e32 v10, v8
	v_sub_f32_e32 v11, v8, v10
	v_cmp_ge_f32_e64 s[12:13], |v11|, 0.5
	v_and_b32_e32 v5, 0xff, v5
	s_nop 0
	v_cndmask_b32_e64 v11, 0, 1.0, s[12:13]
	v_bfi_b32 v8, s16, v11, v8
	v_add_f32_e32 v8, v10, v8
	v_cvt_i32_f32_e32 v8, v8
	v_and_b32_e32 v6, 0xff, v8
	v_trunc_f32_e32 v8, v1
	v_sub_f32_e32 v9, v1, v8
	v_cmp_ge_f32_e64 s[12:13], |v9|, 0.5
	v_lshlrev_b32_e32 v6, 16, v6
	s_nop 0
	v_cndmask_b32_e64 v9, 0, 1.0, s[12:13]
	v_bfi_b32 v1, s16, v9, v1
	v_add_f32_e32 v1, v8, v1
	v_trunc_f32_e32 v8, v0
	v_sub_f32_e32 v9, v0, v8
	v_cmp_ge_f32_e64 s[12:13], |v9|, 0.5
	v_cvt_i32_f32_e32 v1, v1
	s_nop 0
	v_cndmask_b32_e64 v9, 0, 1.0, s[12:13]
	v_bfi_b32 v0, s16, v9, v0
	v_add_f32_e32 v0, v8, v0
	v_cvt_i32_f32_e32 v0, v0
	v_mov_b32_e32 v8, 8
	v_lshlrev_b32_sdwa v1, v8, v1 dst_sel:DWORD dst_unused:UNUSED_PAD src0_sel:DWORD src1_sel:BYTE_0
	v_lshl_or_b32 v0, v0, 24, v6
	v_or3_b32 v5, v0, v1, v5
.LBB23_9:
	s_or_b64 exec, exec, s[8:9]
	ds_write_b32 v7, v5 offset:128
	s_and_b64 exec, exec, s[4:5]
	s_cbranch_execz .LBB23_11
; %bb.10:
	s_waitcnt lgkmcnt(1)
	v_add_f32_e32 v3, v3, v4
	ds_write_b64 v63, v[2:3] offset:288
.LBB23_11:
	s_or_b64 exec, exec, s[6:7]
	v_and_b32_e32 v36, 3, v63
	v_lshlrev_b32_e32 v17, 2, v36
	v_mov_b32_e32 v68, 0
	s_waitcnt lgkmcnt(0)
	s_barrier
	ds_read2_b32 v[18:19], v17 offset1:4
	ds_read2_b32 v[20:21], v17 offset0:8 offset1:12
	ds_read_b128 v[0:3], v68 offset:256
	ds_read_b128 v[4:7], v68 offset:272
	;; [unrolled: 1-line block ×4, first 2 shown]
	ds_read2_b32 v[22:23], v17 offset0:16 offset1:20
	ds_read2_b32 v[24:25], v17 offset0:24 offset1:28
	;; [unrolled: 1-line block ×6, first 2 shown]
	s_ashr_i32 s41, s40, 31
	s_ashr_i32 s4, s38, 31
	;; [unrolled: 1-line block ×3, first 2 shown]
	s_cmp_eq_u64 s[26:27], 0
	s_waitcnt lgkmcnt(0)
	s_barrier
	s_cbranch_scc1 .LBB23_13
; %bb.12:
	s_load_dword s5, s[0:1], 0xd0
	s_mov_b32 s9, 0
	s_waitcnt lgkmcnt(0)
	s_mul_i32 s5, s5, s33
	s_add_i32 s8, s5, s2
	s_lshl_b64 s[8:9], s[8:9], 2
	s_add_u32 s8, s26, s8
	s_addc_u32 s9, s27, s9
	s_load_dword s42, s[8:9], 0x0
.LBB23_13:
	v_lshlrev_b32_e32 v48, 5, v62
	v_add_u32_e32 v17, v48, v63
	s_lshl_b32 s16, s3, 7
	s_mov_b32 s27, 0
	s_waitcnt lgkmcnt(0)
	s_cmp_ge_i32 s16, s42
	v_mov_b32_e32 v94, 0xfeffffff
	v_mov_b32_e32 v78, 0
	v_lshlrev_b32_e32 v67, 2, v63
	v_lshlrev_b32_e32 v65, 1, v17
	v_mov_b32_e32 v79, 0
	v_mov_b32_e32 v80, 0
	;; [unrolled: 1-line block ×15, first 2 shown]
	s_cbranch_scc1 .LBB23_25
; %bb.14:
	s_load_dwordx4 s[36:39], s[0:1], 0x98
	s_load_dwordx2 s[12:13], s[0:1], 0x8c
	s_xor_b32 s4, s41, s4
	s_mul_i32 s46, s46, s10
	v_mbcnt_hi_u32_b32 v46, -1, v64
	s_waitcnt lgkmcnt(0)
	s_mul_i32 s5, s33, s37
	s_mul_hi_u32 s7, s33, s36
	s_add_i32 s5, s7, s5
	s_mul_i32 s7, s47, s44
	s_mul_i32 s8, s6, s36
	s_sub_i32 s7, s45, s7
	s_add_i32 s5, s5, s8
	s_add_i32 s8, s47, 1
	s_sub_i32 s17, s7, s44
	s_cmp_ge_u32 s7, s44
	s_cselect_b32 s8, s8, s47
	s_cselect_b32 s7, s17, s7
	s_add_i32 s17, s8, 1
	s_cmp_ge_u32 s7, s44
	s_cselect_b32 s7, s17, s8
	s_xor_b32 s7, s7, s4
	s_sub_i32 s7, s7, s4
	s_mul_i32 s4, s7, s13
	s_mul_i32 s9, s33, s36
	s_ashr_i32 s13, s4, 31
	s_add_u32 s17, s18, s9
	s_load_dwordx2 s[8:9], s[0:1], 0xa8
	s_addc_u32 s5, s19, s5
	s_add_u32 s26, s17, s4
	s_addc_u32 s13, s5, s13
	s_mul_i32 s7, s7, s39
	s_waitcnt lgkmcnt(0)
	s_mul_i32 s9, s33, s9
	s_mul_hi_u32 s17, s33, s8
	s_add_i32 s9, s17, s9
	s_mul_i32 s17, s6, s8
	s_add_i32 s9, s9, s17
	s_mul_i32 s8, s33, s8
	s_ashr_i32 s17, s7, 31
	s_add_u32 s8, s20, s8
	s_addc_u32 s9, s21, s9
	s_add_u32 s7, s8, s7
	s_addc_u32 s8, s9, s17
	s_sub_i32 s9, s43, s46
	s_sub_i32 s17, s9, s10
	s_cmp_ge_u32 s9, s10
	s_cselect_b32 s9, s17, s9
	s_sub_i32 s17, s9, s10
	s_load_dwordx2 s[4:5], s[0:1], 0xc8
	s_load_dword s44, s[0:1], 0xd4
	s_cmp_ge_u32 s9, s10
	s_cselect_b32 s9, s17, s9
	s_xor_b32 s9, s9, s6
	s_sub_i32 s6, s9, s6
	s_ashr_i32 s9, s6, 31
	s_waitcnt lgkmcnt(0)
	s_mul_i32 s5, s6, s5
	s_mul_hi_u32 s10, s6, s4
	s_add_i32 s5, s10, s5
	s_mul_i32 s9, s9, s4
	s_add_i32 s5, s5, s9
	s_mul_i32 s6, s6, s4
	s_add_u32 s4, s22, s6
	s_mul_i32 s6, s2, s11
	v_and_b32_e32 v38, 0x7c, v46
	s_addc_u32 s5, s23, s5
	s_ashr_i32 s9, s6, 31
	v_add_u32_e32 v38, 4, v38
	v_xor_b32_e32 v39, 2, v46
	s_add_u32 s6, s4, s6
	s_mov_b32 s17, s27
	v_cmp_lt_i32_e32 vcc, v39, v38
	s_addc_u32 s9, s5, s9
	s_lshl_b64 s[4:5], s[16:17], 1
	v_cndmask_b32_e32 v39, v46, v39, vcc
	s_add_u32 s18, s6, s4
	v_lshlrev_b32_e32 v69, 2, v39
	v_xor_b32_e32 v39, 1, v46
	s_addc_u32 s19, s9, s5
	s_mul_i32 s4, s16, s38
	v_cmp_lt_i32_e32 vcc, v39, v38
	s_add_u32 s20, s7, s4
	s_addc_u32 s21, s8, 0
	v_cndmask_b32_e32 v38, v46, v39, vcc
	s_mul_i32 s4, s16, s12
	v_lshlrev_b32_e32 v70, 2, v38
	v_and_b32_e32 v38, 0x60, v46
	s_add_u32 s36, s26, s4
	v_add_u32_e32 v47, 32, v38
	v_cmp_eq_u32_e64 s[4:5], 3, v36
	v_cmp_eq_u32_e64 s[6:7], 0, v36
	;; [unrolled: 1-line block ×4, first 2 shown]
	v_xor_b32_e32 v36, 4, v46
	v_cmp_lt_i32_e32 vcc, v36, v47
	v_lshrrev_b32_e32 v49, 3, v63
	v_and_b32_e32 v34, 0x7c, v63
	v_cndmask_b32_e32 v36, v46, v36, vcc
	v_lshlrev_b32_e32 v71, 2, v36
	v_xor_b32_e32 v36, 8, v46
	v_cmp_lt_i32_e32 vcc, v36, v47
	v_add_u32_e32 v68, v48, v34
	v_lshlrev_b32_e32 v38, 3, v63
	v_cndmask_b32_e32 v36, v46, v36, vcc
	v_lshlrev_b32_e32 v72, 2, v36
	v_xor_b32_e32 v36, 16, v46
	v_cmp_lt_i32_e32 vcc, v36, v47
	v_add_u32_e32 v60, v49, v48
	s_addc_u32 s37, s13, 0
	v_cndmask_b32_e32 v36, v46, v36, vcc
	v_lshlrev_b32_e32 v73, 2, v36
	v_or_b32_e32 v36, v48, v49
	v_lshlrev_b32_e32 v74, 1, v36
	v_mul_lo_u32 v46, v36, s38
	v_or_b32_e32 v36, 16, v36
	v_and_b32_e32 v76, 56, v38
	v_mul_lo_u32 v38, v68, s12
	v_mul_lo_u32 v54, v36, s38
	v_add_u32_e32 v36, 20, v60
	s_cmp_lg_u64 s[22:23], 0
	v_add_u32_e32 v40, s12, v38
	v_mul_lo_u32 v56, v36, s38
	v_add_u32_e32 v36, 24, v60
	s_cselect_b64 s[22:23], -1, 0
	v_add_u32_e32 v42, s12, v40
	v_add_u32_e32 v48, 4, v60
	v_add_u32_e32 v50, 8, v60
	v_add_u32_e32 v52, 12, v60
	v_mul_lo_u32 v58, v36, s38
	v_add_u32_e32 v36, 28, v60
	v_mov_b32_e32 v37, 0
	s_lshl_b32 s26, s44, 7
	v_add_u32_e32 v44, s12, v42
	v_mul_lo_u32 v48, v48, s38
	v_mul_lo_u32 v50, v50, s38
	;; [unrolled: 1-line block ×4, first 2 shown]
	v_lshlrev_b32_e32 v75, 1, v68
	v_cndmask_b32_e64 v68, 0, 1, s[22:23]
	v_and_b32_e32 v34, 12, v67
	v_mov_b32_e32 v35, v37
	s_mul_i32 s17, s26, s12
	s_mul_i32 s39, s26, s38
	v_ashrrev_i32_e32 v39, 31, v38
	v_ashrrev_i32_e32 v41, 31, v40
	v_ashrrev_i32_e32 v43, 31, v42
	v_ashrrev_i32_e32 v45, 31, v44
	v_ashrrev_i32_e32 v47, 31, v46
	v_ashrrev_i32_e32 v49, 31, v48
	v_ashrrev_i32_e32 v51, 31, v50
	v_ashrrev_i32_e32 v53, 31, v52
	v_ashrrev_i32_e32 v55, 31, v54
	v_ashrrev_i32_e32 v57, 31, v56
	v_ashrrev_i32_e32 v59, 31, v58
	v_ashrrev_i32_e32 v61, 31, v60
	v_mov_b32_e32 v95, 0xfeffffff
	s_mov_b32 s38, 0x3fb8aa3b
	s_mov_b32 s43, 0xc2ce8ed0
	;; [unrolled: 1-line block ×3, first 2 shown]
	v_lshlrev_b32_e32 v36, 1, v76
	v_cmp_ne_u32_e64 s[12:13], 1, v68
	v_mov_b32_e32 v76, 0x7f800000
	v_mov_b32_e32 v93, v37
	;; [unrolled: 1-line block ×18, first 2 shown]
                                        ; implicit-def: $vgpr77
.LBB23_15:                              ; =>This Inner Loop Header: Depth=1
	v_lshl_add_u64 v[96:97], s[36:37], 0, v[38:39]
	v_lshl_add_u64 v[98:99], v[96:97], 0, v[34:35]
	global_load_dword v94, v[98:99], off offset:2
	v_mov_b32_e32 v101, 0
	v_mov_b32_e32 v102, 0
	s_and_b64 vcc, exec, s[22:23]
	s_waitcnt vmcnt(0)
	v_and_b32_e32 v100, 0xf0f0f0f, v94
	v_dot4c_i32_i8_e32 v101, v100, v18
	global_load_ushort v100, v[96:97], off
	v_lshrrev_b32_e32 v94, 4, v94
	v_and_b32_e32 v94, 0xf0f0f0f, v94
	v_cvt_f32_i32_e32 v101, v101
	v_dot4c_i32_i8_e32 v102, v94, v19
	v_fma_f32 v101, v0, v101, -v1
	s_nop 1
	v_cvt_f32_i32_e32 v94, v102
	v_mov_b32_e32 v102, 0
	v_fma_f32 v94, v0, v94, -v1
	s_waitcnt vmcnt(0)
	v_fma_mix_f32 v101, v101, v100, 0 op_sel_hi:[0,1,0]
	v_fma_mix_f32 v94, v94, v100, v101 op_sel_hi:[0,1,0]
	global_load_dword v100, v[98:99], off offset:20
	s_waitcnt vmcnt(0)
	v_and_b32_e32 v101, 0xf0f0f0f, v100
	v_dot4c_i32_i8_e32 v102, v101, v20
	global_load_ushort v101, v[96:97], off offset:18
	v_lshrrev_b32_e32 v100, 4, v100
	v_and_b32_e32 v100, 0xf0f0f0f, v100
	v_cvt_f32_i32_e32 v102, v102
	v_fma_f32 v102, v2, v102, -v3
	s_waitcnt vmcnt(0)
	v_fma_mix_f32 v94, v102, v101, v94 op_sel_hi:[0,1,0]
	v_mov_b32_e32 v102, 0
	v_dot4c_i32_i8_e32 v102, v100, v21
	s_nop 2
	v_cvt_f32_i32_e32 v100, v102
	v_mov_b32_e32 v102, 0
	v_fma_f32 v100, v2, v100, -v3
	v_fma_mix_f32 v94, v100, v101, v94 op_sel_hi:[0,1,0]
	global_load_dword v100, v[98:99], off offset:38
	s_waitcnt vmcnt(0)
	v_and_b32_e32 v101, 0xf0f0f0f, v100
	v_dot4c_i32_i8_e32 v102, v101, v22
	global_load_ushort v101, v[96:97], off offset:36
	v_lshrrev_b32_e32 v100, 4, v100
	v_and_b32_e32 v100, 0xf0f0f0f, v100
	v_cvt_f32_i32_e32 v102, v102
	v_fma_f32 v102, v4, v102, -v5
	s_waitcnt vmcnt(0)
	v_fma_mix_f32 v94, v102, v101, v94 op_sel_hi:[0,1,0]
	v_mov_b32_e32 v102, 0
	v_dot4c_i32_i8_e32 v102, v100, v23
	s_nop 2
	v_cvt_f32_i32_e32 v100, v102
	v_mov_b32_e32 v102, 0
	v_fma_f32 v100, v4, v100, -v5
	;; [unrolled: 18-line block ×5, first 2 shown]
	v_fma_mix_f32 v94, v100, v101, v94 op_sel_hi:[0,1,0]
	global_load_dword v100, v[98:99], off offset:110
	s_waitcnt vmcnt(0)
	v_and_b32_e32 v101, 0xf0f0f0f, v100
	v_dot4c_i32_i8_e32 v102, v101, v30
	global_load_ushort v101, v[96:97], off offset:108
	v_lshrrev_b32_e32 v100, 4, v100
	global_load_dword v98, v[98:99], off offset:128
	v_cvt_f32_i32_e32 v102, v102
	global_load_ushort v96, v[96:97], off offset:126
	v_and_b32_e32 v100, 0xf0f0f0f, v100
	v_fma_f32 v102, v12, v102, -v13
	s_waitcnt vmcnt(2)
	v_fma_mix_f32 v94, v102, v101, v94 op_sel_hi:[0,1,0]
	v_mov_b32_e32 v102, 0
	v_dot4c_i32_i8_e32 v102, v100, v31
	s_waitcnt vmcnt(1)
	v_and_b32_e32 v99, 0xf0f0f0f, v98
	s_nop 0
	v_cvt_f32_i32_e32 v100, v102
	v_fma_f32 v100, v12, v100, -v13
	v_fma_mix_f32 v94, v100, v101, v94 op_sel_hi:[0,1,0]
	v_mov_b32_e32 v100, 0
	v_dot4c_i32_i8_e32 v100, v99, v32
	s_nop 2
	v_cvt_f32_i32_e32 v97, v100
	v_fma_f32 v97, v14, v97, -v15
	s_waitcnt vmcnt(0)
	v_fma_mix_f32 v94, v97, v96, v94 op_sel_hi:[0,1,0]
	v_lshrrev_b32_e32 v97, 4, v98
	v_and_b32_e32 v97, 0xf0f0f0f, v97
	v_mov_b32_e32 v98, 0
	v_dot4c_i32_i8_e32 v98, v97, v33
	s_nop 2
	v_cvt_f32_i32_e32 v97, v98
	v_fma_f32 v97, v14, v97, -v15
	v_fma_mix_f32 v94, v97, v96, v94 op_sel_hi:[0,1,0]
	ds_bpermute_b32 v96, v69, v94
	s_waitcnt lgkmcnt(0)
	v_add_f32_e32 v94, v94, v96
	ds_bpermute_b32 v96, v70, v94
	s_waitcnt lgkmcnt(0)
	v_add_f32_e32 v94, v94, v96
	s_cbranch_vccz .LBB23_17
; %bb.16:                               ;   in Loop: Header=BB23_15 Depth=1
	global_load_ushort v96, v75, s[18:19]
	s_waitcnt vmcnt(0)
	v_fma_mix_f32 v94, v66, v96, v94 op_sel_hi:[0,1,0]
.LBB23_17:                              ;   in Loop: Header=BB23_15 Depth=1
	v_lshl_add_u64 v[96:97], s[36:37], 0, v[40:41]
	v_lshl_add_u64 v[98:99], v[96:97], 0, v[34:35]
	global_load_dword v100, v[98:99], off offset:2
	v_mov_b32_e32 v102, 0
	v_mov_b32_e32 v103, 0
	s_and_b64 vcc, exec, s[12:13]
	s_waitcnt vmcnt(0)
	v_and_b32_e32 v101, 0xf0f0f0f, v100
	v_dot4c_i32_i8_e32 v102, v101, v18
	global_load_ushort v101, v[96:97], off
	v_lshrrev_b32_e32 v100, 4, v100
	v_and_b32_e32 v100, 0xf0f0f0f, v100
	v_cvt_f32_i32_e32 v102, v102
	v_dot4c_i32_i8_e32 v103, v100, v19
	v_fma_f32 v102, v0, v102, -v1
	s_nop 1
	v_cvt_f32_i32_e32 v100, v103
	v_mov_b32_e32 v103, 0
	v_fma_f32 v100, v0, v100, -v1
	s_waitcnt vmcnt(0)
	v_fma_mix_f32 v102, v102, v101, 0 op_sel_hi:[0,1,0]
	v_fma_mix_f32 v100, v100, v101, v102 op_sel_hi:[0,1,0]
	global_load_dword v101, v[98:99], off offset:20
	s_waitcnt vmcnt(0)
	v_and_b32_e32 v102, 0xf0f0f0f, v101
	v_dot4c_i32_i8_e32 v103, v102, v20
	global_load_ushort v102, v[96:97], off offset:18
	v_lshrrev_b32_e32 v101, 4, v101
	v_and_b32_e32 v101, 0xf0f0f0f, v101
	v_cvt_f32_i32_e32 v103, v103
	v_fma_f32 v103, v2, v103, -v3
	s_waitcnt vmcnt(0)
	v_fma_mix_f32 v100, v103, v102, v100 op_sel_hi:[0,1,0]
	v_mov_b32_e32 v103, 0
	v_dot4c_i32_i8_e32 v103, v101, v21
	s_nop 2
	v_cvt_f32_i32_e32 v101, v103
	v_mov_b32_e32 v103, 0
	v_fma_f32 v101, v2, v101, -v3
	v_fma_mix_f32 v100, v101, v102, v100 op_sel_hi:[0,1,0]
	global_load_dword v101, v[98:99], off offset:38
	s_waitcnt vmcnt(0)
	v_and_b32_e32 v102, 0xf0f0f0f, v101
	v_dot4c_i32_i8_e32 v103, v102, v22
	global_load_ushort v102, v[96:97], off offset:36
	v_lshrrev_b32_e32 v101, 4, v101
	v_and_b32_e32 v101, 0xf0f0f0f, v101
	v_cvt_f32_i32_e32 v103, v103
	v_fma_f32 v103, v4, v103, -v5
	s_waitcnt vmcnt(0)
	v_fma_mix_f32 v100, v103, v102, v100 op_sel_hi:[0,1,0]
	v_mov_b32_e32 v103, 0
	v_dot4c_i32_i8_e32 v103, v101, v23
	s_nop 2
	v_cvt_f32_i32_e32 v101, v103
	v_mov_b32_e32 v103, 0
	v_fma_f32 v101, v4, v101, -v5
	;; [unrolled: 18-line block ×5, first 2 shown]
	v_fma_mix_f32 v100, v101, v102, v100 op_sel_hi:[0,1,0]
	global_load_dword v101, v[98:99], off offset:110
	s_waitcnt vmcnt(0)
	v_and_b32_e32 v102, 0xf0f0f0f, v101
	v_dot4c_i32_i8_e32 v103, v102, v30
	global_load_ushort v102, v[96:97], off offset:108
	v_lshrrev_b32_e32 v101, 4, v101
	global_load_dword v98, v[98:99], off offset:128
	v_cvt_f32_i32_e32 v103, v103
	global_load_ushort v96, v[96:97], off offset:126
	v_and_b32_e32 v101, 0xf0f0f0f, v101
	v_fma_f32 v103, v12, v103, -v13
	s_waitcnt vmcnt(2)
	v_fma_mix_f32 v100, v103, v102, v100 op_sel_hi:[0,1,0]
	v_mov_b32_e32 v103, 0
	v_dot4c_i32_i8_e32 v103, v101, v31
	s_waitcnt vmcnt(1)
	v_and_b32_e32 v99, 0xf0f0f0f, v98
	v_lshrrev_b32_e32 v98, 4, v98
	v_and_b32_e32 v98, 0xf0f0f0f, v98
	v_cvt_f32_i32_e32 v101, v103
	v_fma_f32 v101, v12, v101, -v13
	v_fma_mix_f32 v100, v101, v102, v100 op_sel_hi:[0,1,0]
	v_mov_b32_e32 v101, 0
	v_dot4c_i32_i8_e32 v101, v99, v32
	v_mov_b32_e32 v99, 0
	v_dot4c_i32_i8_e32 v99, v98, v33
	s_nop 0
	v_cvt_f32_i32_e32 v97, v101
	v_fma_f32 v97, v14, v97, -v15
	v_cvt_f32_i32_e32 v98, v99
	s_waitcnt vmcnt(0)
	v_fma_mix_f32 v97, v97, v96, v100 op_sel_hi:[0,1,0]
	v_fma_f32 v98, v14, v98, -v15
	v_fma_mix_f32 v96, v98, v96, v97 op_sel_hi:[0,1,0]
	ds_bpermute_b32 v97, v69, v96
	s_waitcnt lgkmcnt(0)
	v_add_f32_e32 v96, v96, v97
	ds_bpermute_b32 v97, v70, v96
	s_waitcnt lgkmcnt(0)
	v_add_f32_e32 v96, v96, v97
	s_cbranch_vccnz .LBB23_19
; %bb.18:                               ;   in Loop: Header=BB23_15 Depth=1
	global_load_ushort v97, v75, s[18:19] offset:2
	s_waitcnt vmcnt(0)
	v_fma_mix_f32 v96, v66, v97, v96 op_sel_hi:[0,1,0]
.LBB23_19:                              ;   in Loop: Header=BB23_15 Depth=1
	v_lshl_add_u64 v[98:99], s[36:37], 0, v[42:43]
	v_lshl_add_u64 v[100:101], v[98:99], 0, v[34:35]
	global_load_dword v97, v[100:101], off offset:2
	v_mov_b32_e32 v103, 0
	v_mov_b32_e32 v104, 0
	s_and_b64 vcc, exec, s[12:13]
	s_waitcnt vmcnt(0)
	v_and_b32_e32 v102, 0xf0f0f0f, v97
	v_dot4c_i32_i8_e32 v103, v102, v18
	global_load_ushort v102, v[98:99], off
	v_lshrrev_b32_e32 v97, 4, v97
	v_and_b32_e32 v97, 0xf0f0f0f, v97
	v_cvt_f32_i32_e32 v103, v103
	v_dot4c_i32_i8_e32 v104, v97, v19
	v_fma_f32 v103, v0, v103, -v1
	s_nop 1
	v_cvt_f32_i32_e32 v97, v104
	v_mov_b32_e32 v104, 0
	v_fma_f32 v97, v0, v97, -v1
	s_waitcnt vmcnt(0)
	v_fma_mix_f32 v103, v103, v102, 0 op_sel_hi:[0,1,0]
	v_fma_mix_f32 v97, v97, v102, v103 op_sel_hi:[0,1,0]
	global_load_dword v102, v[100:101], off offset:20
	s_waitcnt vmcnt(0)
	v_and_b32_e32 v103, 0xf0f0f0f, v102
	v_dot4c_i32_i8_e32 v104, v103, v20
	global_load_ushort v103, v[98:99], off offset:18
	v_lshrrev_b32_e32 v102, 4, v102
	v_and_b32_e32 v102, 0xf0f0f0f, v102
	v_cvt_f32_i32_e32 v104, v104
	v_fma_f32 v104, v2, v104, -v3
	s_waitcnt vmcnt(0)
	v_fma_mix_f32 v97, v104, v103, v97 op_sel_hi:[0,1,0]
	v_mov_b32_e32 v104, 0
	v_dot4c_i32_i8_e32 v104, v102, v21
	s_nop 2
	v_cvt_f32_i32_e32 v102, v104
	v_mov_b32_e32 v104, 0
	v_fma_f32 v102, v2, v102, -v3
	v_fma_mix_f32 v97, v102, v103, v97 op_sel_hi:[0,1,0]
	global_load_dword v102, v[100:101], off offset:38
	s_waitcnt vmcnt(0)
	v_and_b32_e32 v103, 0xf0f0f0f, v102
	v_dot4c_i32_i8_e32 v104, v103, v22
	global_load_ushort v103, v[98:99], off offset:36
	v_lshrrev_b32_e32 v102, 4, v102
	v_and_b32_e32 v102, 0xf0f0f0f, v102
	v_cvt_f32_i32_e32 v104, v104
	v_fma_f32 v104, v4, v104, -v5
	s_waitcnt vmcnt(0)
	v_fma_mix_f32 v97, v104, v103, v97 op_sel_hi:[0,1,0]
	v_mov_b32_e32 v104, 0
	v_dot4c_i32_i8_e32 v104, v102, v23
	s_nop 2
	v_cvt_f32_i32_e32 v102, v104
	v_mov_b32_e32 v104, 0
	v_fma_f32 v102, v4, v102, -v5
	;; [unrolled: 18-line block ×5, first 2 shown]
	v_fma_mix_f32 v97, v102, v103, v97 op_sel_hi:[0,1,0]
	global_load_dword v102, v[100:101], off offset:110
	s_waitcnt vmcnt(0)
	v_and_b32_e32 v103, 0xf0f0f0f, v102
	v_dot4c_i32_i8_e32 v104, v103, v30
	global_load_ushort v103, v[98:99], off offset:108
	v_lshrrev_b32_e32 v102, 4, v102
	global_load_dword v100, v[100:101], off offset:128
	v_cvt_f32_i32_e32 v104, v104
	global_load_ushort v98, v[98:99], off offset:126
	v_and_b32_e32 v102, 0xf0f0f0f, v102
	v_fma_f32 v104, v12, v104, -v13
	s_waitcnt vmcnt(2)
	v_fma_mix_f32 v97, v104, v103, v97 op_sel_hi:[0,1,0]
	v_mov_b32_e32 v104, 0
	v_dot4c_i32_i8_e32 v104, v102, v31
	s_waitcnt vmcnt(1)
	v_and_b32_e32 v101, 0xf0f0f0f, v100
	s_nop 0
	v_cvt_f32_i32_e32 v102, v104
	v_fma_f32 v102, v12, v102, -v13
	v_fma_mix_f32 v97, v102, v103, v97 op_sel_hi:[0,1,0]
	v_mov_b32_e32 v102, 0
	v_dot4c_i32_i8_e32 v102, v101, v32
	s_nop 2
	v_cvt_f32_i32_e32 v99, v102
	v_fma_f32 v99, v14, v99, -v15
	s_waitcnt vmcnt(0)
	v_fma_mix_f32 v97, v99, v98, v97 op_sel_hi:[0,1,0]
	v_lshrrev_b32_e32 v99, 4, v100
	v_and_b32_e32 v99, 0xf0f0f0f, v99
	v_mov_b32_e32 v100, 0
	v_dot4c_i32_i8_e32 v100, v99, v33
	s_nop 2
	v_cvt_f32_i32_e32 v99, v100
	v_fma_f32 v99, v14, v99, -v15
	v_fma_mix_f32 v97, v99, v98, v97 op_sel_hi:[0,1,0]
	ds_bpermute_b32 v98, v69, v97
	s_waitcnt lgkmcnt(0)
	v_add_f32_e32 v97, v97, v98
	ds_bpermute_b32 v98, v70, v97
	s_waitcnt lgkmcnt(0)
	v_add_f32_e32 v97, v97, v98
	s_cbranch_vccnz .LBB23_21
; %bb.20:                               ;   in Loop: Header=BB23_15 Depth=1
	global_load_ushort v98, v75, s[18:19] offset:4
	s_waitcnt vmcnt(0)
	v_fma_mix_f32 v97, v66, v98, v97 op_sel_hi:[0,1,0]
.LBB23_21:                              ;   in Loop: Header=BB23_15 Depth=1
	v_lshl_add_u64 v[98:99], s[36:37], 0, v[44:45]
	v_lshl_add_u64 v[100:101], v[98:99], 0, v[34:35]
	global_load_dword v102, v[100:101], off offset:2
	v_mov_b32_e32 v104, 0
	v_mov_b32_e32 v105, 0
	s_and_b64 vcc, exec, s[12:13]
	s_waitcnt vmcnt(0)
	v_and_b32_e32 v103, 0xf0f0f0f, v102
	v_dot4c_i32_i8_e32 v104, v103, v18
	global_load_ushort v103, v[98:99], off
	v_lshrrev_b32_e32 v102, 4, v102
	v_and_b32_e32 v102, 0xf0f0f0f, v102
	v_cvt_f32_i32_e32 v104, v104
	v_dot4c_i32_i8_e32 v105, v102, v19
	v_fma_f32 v104, v0, v104, -v1
	s_nop 1
	v_cvt_f32_i32_e32 v102, v105
	v_mov_b32_e32 v105, 0
	v_fma_f32 v102, v0, v102, -v1
	s_waitcnt vmcnt(0)
	v_fma_mix_f32 v104, v104, v103, 0 op_sel_hi:[0,1,0]
	v_fma_mix_f32 v102, v102, v103, v104 op_sel_hi:[0,1,0]
	global_load_dword v103, v[100:101], off offset:20
	s_waitcnt vmcnt(0)
	v_and_b32_e32 v104, 0xf0f0f0f, v103
	v_dot4c_i32_i8_e32 v105, v104, v20
	global_load_ushort v104, v[98:99], off offset:18
	v_lshrrev_b32_e32 v103, 4, v103
	v_and_b32_e32 v103, 0xf0f0f0f, v103
	v_cvt_f32_i32_e32 v105, v105
	v_fma_f32 v105, v2, v105, -v3
	s_waitcnt vmcnt(0)
	v_fma_mix_f32 v102, v105, v104, v102 op_sel_hi:[0,1,0]
	v_mov_b32_e32 v105, 0
	v_dot4c_i32_i8_e32 v105, v103, v21
	s_nop 2
	v_cvt_f32_i32_e32 v103, v105
	v_mov_b32_e32 v105, 0
	v_fma_f32 v103, v2, v103, -v3
	v_fma_mix_f32 v102, v103, v104, v102 op_sel_hi:[0,1,0]
	global_load_dword v103, v[100:101], off offset:38
	s_waitcnt vmcnt(0)
	v_and_b32_e32 v104, 0xf0f0f0f, v103
	v_dot4c_i32_i8_e32 v105, v104, v22
	global_load_ushort v104, v[98:99], off offset:36
	v_lshrrev_b32_e32 v103, 4, v103
	v_and_b32_e32 v103, 0xf0f0f0f, v103
	v_cvt_f32_i32_e32 v105, v105
	v_fma_f32 v105, v4, v105, -v5
	s_waitcnt vmcnt(0)
	v_fma_mix_f32 v102, v105, v104, v102 op_sel_hi:[0,1,0]
	v_mov_b32_e32 v105, 0
	v_dot4c_i32_i8_e32 v105, v103, v23
	s_nop 2
	v_cvt_f32_i32_e32 v103, v105
	v_mov_b32_e32 v105, 0
	v_fma_f32 v103, v4, v103, -v5
	;; [unrolled: 18-line block ×5, first 2 shown]
	v_fma_mix_f32 v102, v103, v104, v102 op_sel_hi:[0,1,0]
	global_load_dword v103, v[100:101], off offset:110
	s_waitcnt vmcnt(0)
	v_and_b32_e32 v104, 0xf0f0f0f, v103
	v_dot4c_i32_i8_e32 v105, v104, v30
	global_load_ushort v104, v[98:99], off offset:108
	v_lshrrev_b32_e32 v103, 4, v103
	global_load_dword v100, v[100:101], off offset:128
	v_cvt_f32_i32_e32 v105, v105
	global_load_ushort v98, v[98:99], off offset:126
	v_and_b32_e32 v103, 0xf0f0f0f, v103
	v_fma_f32 v105, v12, v105, -v13
	s_waitcnt vmcnt(2)
	v_fma_mix_f32 v102, v105, v104, v102 op_sel_hi:[0,1,0]
	v_mov_b32_e32 v105, 0
	v_dot4c_i32_i8_e32 v105, v103, v31
	s_waitcnt vmcnt(1)
	v_and_b32_e32 v101, 0xf0f0f0f, v100
	v_lshrrev_b32_e32 v100, 4, v100
	v_and_b32_e32 v100, 0xf0f0f0f, v100
	v_cvt_f32_i32_e32 v103, v105
	v_fma_f32 v103, v12, v103, -v13
	v_fma_mix_f32 v102, v103, v104, v102 op_sel_hi:[0,1,0]
	v_mov_b32_e32 v103, 0
	v_dot4c_i32_i8_e32 v103, v101, v32
	v_mov_b32_e32 v101, 0
	v_dot4c_i32_i8_e32 v101, v100, v33
	s_nop 0
	v_cvt_f32_i32_e32 v99, v103
	v_fma_f32 v99, v14, v99, -v15
	v_cvt_f32_i32_e32 v100, v101
	s_waitcnt vmcnt(0)
	v_fma_mix_f32 v99, v99, v98, v102 op_sel_hi:[0,1,0]
	v_fma_f32 v100, v14, v100, -v15
	v_fma_mix_f32 v98, v100, v98, v99 op_sel_hi:[0,1,0]
	ds_bpermute_b32 v99, v69, v98
	s_waitcnt lgkmcnt(0)
	v_add_f32_e32 v98, v98, v99
	ds_bpermute_b32 v99, v70, v98
	s_waitcnt lgkmcnt(0)
	v_add_f32_e32 v98, v98, v99
	s_cbranch_vccnz .LBB23_23
; %bb.22:                               ;   in Loop: Header=BB23_15 Depth=1
	global_load_ushort v99, v75, s[18:19] offset:6
	s_waitcnt vmcnt(0)
	v_fma_mix_f32 v98, v66, v99, v98 op_sel_hi:[0,1,0]
.LBB23_23:                              ;   in Loop: Header=BB23_15 Depth=1
	v_add_f32_e32 v99, 0x40051340, v94
	v_add_f32_e32 v106, 0x40051340, v96
	;; [unrolled: 1-line block ×4, first 2 shown]
	v_max3_f32 v99, v95, v99, v106
	v_max3_f32 v99, v99, v107, v108
	ds_bpermute_b32 v106, v71, v99
	v_lshl_add_u64 v[100:101], s[20:21], 0, v[46:47]
	v_lshl_add_u64 v[100:101], v[100:101], 0, v[36:37]
	global_load_dwordx4 v[102:105], v[100:101], off
	v_cndmask_b32_e64 v77, v77, v94, s[6:7]
	s_waitcnt lgkmcnt(0)
	v_max_f32_e32 v106, v106, v106
	v_max_f32_e32 v99, v99, v106
	global_load_dwordx4 v[106:109], v[100:101], off offset:128
	ds_bpermute_b32 v110, v72, v99
	v_cndmask_b32_e64 v77, v77, v96, s[8:9]
	v_cndmask_b32_e64 v77, v77, v97, s[10:11]
	;; [unrolled: 1-line block ×3, first 2 shown]
	s_add_i32 s16, s26, s16
	s_waitcnt lgkmcnt(0)
	v_max_f32_e32 v110, v110, v110
	v_max_f32_e32 v99, v99, v110
	ds_bpermute_b32 v110, v73, v99
	s_add_u32 s36, s36, s17
	s_addc_u32 s37, s37, 0
	s_waitcnt lgkmcnt(0)
	v_max_f32_e32 v94, v110, v110
	v_max_f32_e32 v94, v99, v94
	v_sub_f32_e32 v77, v77, v94
	v_mul_f32_e32 v97, 0x3fb8aa3b, v77
	v_fma_f32 v110, v77, s38, -v97
	v_rndne_f32_e32 v111, v97
	v_fmac_f32_e32 v110, 0x32a5705f, v77
	v_sub_f32_e32 v97, v97, v111
	v_cvt_i32_f32_e32 v118, v111
	v_add_f32_e32 v97, v97, v110
	global_load_dwordx4 v[110:113], v[100:101], off offset:256
	global_load_dwordx4 v[114:117], v[100:101], off offset:384
	v_sub_f32_e32 v95, v95, v94
	v_mul_f32_e32 v96, 0x3fb8aa3b, v95
	v_fma_f32 v98, v95, s38, -v96
	v_rndne_f32_e32 v99, v96
	v_fmac_f32_e32 v98, 0x32a5705f, v95
	v_sub_f32_e32 v96, v96, v99
	v_add_f32_e32 v96, v96, v98
	v_cvt_i32_f32_e32 v99, v99
	v_exp_f32_e32 v96, v96
	v_exp_f32_e32 v97, v97
	v_cmp_ngt_f32_e32 vcc, s43, v95
	v_ldexp_f32 v96, v96, v99
	v_ldexp_f32 v97, v97, v118
	v_cndmask_b32_e32 v96, 0, v96, vcc
	v_cmp_ngt_f32_e32 vcc, s43, v77
	s_waitcnt vmcnt(3)
	v_lshlrev_b32_e32 v123, 16, v104
	v_cndmask_b32_e32 v97, 0, v97, vcc
	v_cmp_nlt_f32_e32 vcc, s44, v77
	v_and_b32_e32 v104, 0xffff0000, v104
	v_lshlrev_b32_e32 v124, 16, v105
	v_cndmask_b32_e32 v77, v76, v97, vcc
	v_cvt_f16_f32_e32 v97, v77
	v_cmp_nlt_f32_e32 vcc, s44, v95
	v_and_b32_e32 v105, 0xffff0000, v105
	v_cvt_f16_f32_e32 v104, v104
	v_cvt_f16_f32_e32 v123, v123
	v_cndmask_b32_e32 v95, v76, v96, vcc
	v_lshlrev_b32_e32 v121, 16, v102
	v_and_b32_e32 v102, 0xffff0000, v102
	v_lshlrev_b32_e32 v122, 16, v103
	v_and_b32_e32 v103, 0xffff0000, v103
	v_cvt_f16_f32_e32 v105, v105
	v_cvt_f16_f32_e32 v124, v124
	;; [unrolled: 1-line block ×7, first 2 shown]
	ds_write_b16 v65, v97
	v_pack_b32_f16 v104, v123, v104
	ds_read_u16 v119, v74
	ds_read_u16 v120, v74 offset:8
	ds_read_u16 v101, v74 offset:16
	;; [unrolled: 1-line block ×7, first 2 shown]
	v_pack_b32_f16 v105, v124, v105
	s_waitcnt lgkmcnt(7)
	v_pk_mul_f16 v104, v119, v104 op_sel_hi:[0,1]
	v_pack_b32_f16 v102, v121, v102
	v_pack_b32_f16 v103, v122, v103
	v_pk_fma_f16 v123, v118, v91, v104 op_sel_hi:[0,1,1]
	v_pk_mul_f16 v91, v119, v105 op_sel_hi:[0,1]
	v_pk_mul_f16 v102, v119, v102 op_sel_hi:[0,1]
	;; [unrolled: 1-line block ×3, first 2 shown]
	v_pk_fma_f16 v124, v118, v90, v91 op_sel_hi:[0,1,1]
	s_waitcnt vmcnt(2)
	v_lshlrev_b32_e32 v90, 16, v106
	v_and_b32_e32 v91, 0xffff0000, v106
	v_pk_fma_f16 v121, v118, v93, v102 op_sel_hi:[0,1,1]
	v_pk_fma_f16 v122, v118, v92, v103 op_sel_hi:[0,1,1]
	v_cvt_f16_f32_e32 v102, v91
	v_cvt_f16_f32_e32 v103, v90
	v_lshlrev_b32_e32 v90, 16, v107
	v_and_b32_e32 v91, 0xffff0000, v107
	v_cvt_f16_f32_e32 v104, v91
	v_cvt_f16_f32_e32 v105, v90
	v_lshlrev_b32_e32 v125, 16, v108
	v_and_b32_e32 v108, 0xffff0000, v108
	;; [unrolled: 4-line block ×3, first 2 shown]
	v_lshl_add_u64 v[90:91], s[20:21], 0, v[48:49]
	v_cvt_f16_f32_e32 v109, v109
	v_cvt_f16_f32_e32 v126, v126
	v_lshl_add_u64 v[106:107], v[90:91], 0, v[36:37]
	v_pack_b32_f16 v102, v103, v102
	global_load_dwordx4 v[90:93], v[106:107], off
	v_pack_b32_f16 v103, v105, v104
	v_pk_mul_f16 v102, v119, v102 op_sel_hi:[0,1]
	v_pack_b32_f16 v104, v125, v108
	v_pk_fma_f16 v108, v118, v89, v102 op_sel_hi:[0,1,1]
	v_pk_mul_f16 v89, v119, v103 op_sel_hi:[0,1]
	v_pack_b32_f16 v105, v126, v109
	v_pk_fma_f16 v109, v118, v88, v89 op_sel_hi:[0,1,1]
	v_pk_mul_f16 v88, v119, v104 op_sel_hi:[0,1]
	v_pk_fma_f16 v125, v118, v87, v88 op_sel_hi:[0,1,1]
	v_pk_mul_f16 v87, v119, v105 op_sel_hi:[0,1]
	v_pk_fma_f16 v126, v118, v86, v87 op_sel_hi:[0,1,1]
	s_waitcnt vmcnt(2)
	v_and_b32_e32 v86, 0xffff0000, v110
	v_cvt_f16_f32_e32 v103, v86
	global_load_dwordx4 v[86:89], v[106:107], off offset:128
	v_lshlrev_b32_e32 v102, 16, v110
	v_cvt_f16_f32_e32 v102, v102
	v_lshlrev_b32_e32 v104, 16, v111
	v_and_b32_e32 v105, 0xffff0000, v111
	v_cvt_f16_f32_e32 v105, v105
	v_cvt_f16_f32_e32 v104, v104
	v_lshlrev_b32_e32 v110, 16, v112
	v_and_b32_e32 v111, 0xffff0000, v112
	v_cvt_f16_f32_e32 v111, v111
	;; [unrolled: 4-line block ×3, first 2 shown]
	v_cvt_f16_f32_e32 v112, v112
	v_pack_b32_f16 v102, v102, v103
	v_pack_b32_f16 v103, v104, v105
	v_pk_mul_f16 v102, v119, v102 op_sel_hi:[0,1]
	v_pack_b32_f16 v104, v110, v111
	v_pk_fma_f16 v110, v118, v85, v102 op_sel_hi:[0,1,1]
	v_pk_mul_f16 v85, v119, v103 op_sel_hi:[0,1]
	v_pack_b32_f16 v105, v112, v113
	v_pk_fma_f16 v111, v118, v84, v85 op_sel_hi:[0,1,1]
	v_pk_mul_f16 v84, v119, v104 op_sel_hi:[0,1]
	v_pk_fma_f16 v112, v118, v83, v84 op_sel_hi:[0,1,1]
	v_pk_mul_f16 v83, v119, v105 op_sel_hi:[0,1]
	global_load_dwordx4 v[102:105], v[106:107], off offset:256
	v_pk_fma_f16 v113, v118, v81, v83 op_sel_hi:[0,1,1]
	s_waitcnt vmcnt(3)
	v_lshlrev_b32_e32 v81, 16, v114
	v_and_b32_e32 v83, 0xffff0000, v114
	v_cvt_f16_f32_e32 v83, v83
	v_cvt_f16_f32_e32 v81, v81
	v_lshlrev_b32_e32 v84, 16, v115
	v_and_b32_e32 v85, 0xffff0000, v115
	v_cvt_f16_f32_e32 v85, v85
	v_cvt_f16_f32_e32 v84, v84
	v_lshlrev_b32_e32 v114, 16, v116
	v_and_b32_e32 v115, 0xffff0000, v116
	v_lshlrev_b32_e32 v116, 16, v117
	v_and_b32_e32 v117, 0xffff0000, v117
	v_cvt_f16_f32_e32 v115, v115
	v_cvt_f16_f32_e32 v114, v114
	;; [unrolled: 1-line block ×4, first 2 shown]
	v_pack_b32_f16 v81, v81, v83
	v_pack_b32_f16 v83, v84, v85
	v_pk_mul_f16 v81, v119, v81 op_sel_hi:[0,1]
	v_pack_b32_f16 v114, v114, v115
	v_pack_b32_f16 v115, v116, v117
	v_pk_fma_f16 v116, v118, v82, v81 op_sel_hi:[0,1,1]
	v_pk_mul_f16 v81, v119, v83 op_sel_hi:[0,1]
	global_load_dwordx4 v[82:85], v[106:107], off offset:384
	v_pk_fma_f16 v117, v118, v80, v81 op_sel_hi:[0,1,1]
	v_pk_mul_f16 v80, v119, v114 op_sel_hi:[0,1]
	v_pk_fma_f16 v114, v118, v79, v80 op_sel_hi:[0,1,1]
	v_pk_mul_f16 v79, v119, v115 op_sel_hi:[0,1]
	v_pk_fma_f16 v115, v118, v78, v79 op_sel_hi:[0,1,1]
	v_fma_f32 v68, v68, v95, v77
	s_waitcnt vmcnt(3)
	v_lshlrev_b32_e32 v78, 16, v90
	v_and_b32_e32 v79, 0xffff0000, v90
	v_lshlrev_b32_e32 v80, 16, v91
	v_and_b32_e32 v81, 0xffff0000, v91
	;; [unrolled: 2-line block ×4, first 2 shown]
	v_cvt_f16_f32_e32 v91, v91
	v_cvt_f16_f32_e32 v90, v90
	;; [unrolled: 1-line block ×6, first 2 shown]
	v_pack_b32_f16 v90, v90, v91
	v_pack_b32_f16 v91, v92, v93
	s_waitcnt vmcnt(2)
	v_lshlrev_b32_e32 v92, 16, v86
	v_and_b32_e32 v86, 0xffff0000, v86
	v_cvt_f16_f32_e32 v86, v86
	v_cvt_f16_f32_e32 v92, v92
	;; [unrolled: 1-line block ×4, first 2 shown]
	v_pack_b32_f16 v118, v78, v79
	s_waitcnt lgkmcnt(6)
	v_pk_fma_f16 v118, v120, v118, v121 op_sel_hi:[0,1,1]
	v_pk_fma_f16 v121, v120, v90, v123 op_sel_hi:[0,1,1]
	v_pack_b32_f16 v90, v92, v86
	v_lshlrev_b32_e32 v92, 16, v89
	v_and_b32_e32 v89, 0xffff0000, v89
	v_lshl_add_u64 v[78:79], s[20:21], 0, v[50:51]
	v_cvt_f16_f32_e32 v93, v89
	v_cvt_f16_f32_e32 v92, v92
	v_lshl_add_u64 v[106:107], v[78:79], 0, v[36:37]
	v_pack_b32_f16 v119, v80, v81
	global_load_dwordx4 v[78:81], v[106:107], off
	v_pk_fma_f16 v119, v120, v119, v122 op_sel_hi:[0,1,1]
	v_pk_fma_f16 v122, v120, v91, v124 op_sel_hi:[0,1,1]
	v_lshlrev_b32_e32 v86, 16, v87
	v_and_b32_e32 v87, 0xffff0000, v87
	v_lshlrev_b32_e32 v91, 16, v88
	v_and_b32_e32 v88, 0xffff0000, v88
	v_cvt_f16_f32_e32 v87, v87
	v_cvt_f16_f32_e32 v86, v86
	;; [unrolled: 1-line block ×4, first 2 shown]
	v_pack_b32_f16 v92, v92, v93
	v_pk_fma_f16 v108, v120, v90, v108 op_sel_hi:[0,1,1]
	s_waitcnt vmcnt(2)
	v_lshlrev_b32_e32 v90, 16, v102
	v_and_b32_e32 v93, 0xffff0000, v102
	v_cvt_f16_f32_e32 v93, v93
	v_cvt_f16_f32_e32 v90, v90
	v_pack_b32_f16 v123, v86, v87
	v_pack_b32_f16 v91, v91, v88
	global_load_dwordx4 v[86:89], v[106:107], off offset:128
	v_pk_fma_f16 v109, v120, v123, v109 op_sel_hi:[0,1,1]
	v_pk_fma_f16 v123, v120, v91, v125 op_sel_hi:[0,1,1]
	;; [unrolled: 1-line block ×3, first 2 shown]
	v_pack_b32_f16 v102, v90, v93
	v_lshlrev_b32_e32 v90, 16, v103
	v_and_b32_e32 v91, 0xffff0000, v103
	v_lshlrev_b32_e32 v92, 16, v104
	v_and_b32_e32 v93, 0xffff0000, v104
	v_cvt_f16_f32_e32 v91, v91
	v_cvt_f16_f32_e32 v90, v90
	;; [unrolled: 1-line block ×4, first 2 shown]
	v_lshlrev_b32_e32 v103, 16, v105
	v_and_b32_e32 v104, 0xffff0000, v105
	v_pack_b32_f16 v105, v90, v91
	v_pack_b32_f16 v125, v92, v93
	global_load_dwordx4 v[90:93], v[106:107], off offset:256
	v_cvt_f16_f32_e32 v104, v104
	v_cvt_f16_f32_e32 v103, v103
	v_pk_fma_f16 v105, v120, v105, v111 op_sel_hi:[0,1,1]
	v_pack_b32_f16 v103, v103, v104
	v_pk_fma_f16 v104, v120, v102, v110 op_sel_hi:[0,1,1]
	s_waitcnt vmcnt(3)
	v_lshlrev_b32_e32 v102, 16, v82
	v_and_b32_e32 v82, 0xffff0000, v82
	v_cvt_f16_f32_e32 v82, v82
	v_cvt_f16_f32_e32 v102, v102
	v_pk_fma_f16 v111, v120, v103, v113 op_sel_hi:[0,1,1]
	v_lshlrev_b32_e32 v103, 16, v84
	v_and_b32_e32 v84, 0xffff0000, v84
	v_pack_b32_f16 v102, v102, v82
	v_lshlrev_b32_e32 v82, 16, v83
	v_and_b32_e32 v83, 0xffff0000, v83
	v_cvt_f16_f32_e32 v83, v83
	v_cvt_f16_f32_e32 v82, v82
	;; [unrolled: 1-line block ×4, first 2 shown]
	v_pk_fma_f16 v110, v120, v125, v112 op_sel_hi:[0,1,1]
	v_lshlrev_b32_e32 v112, 16, v85
	v_and_b32_e32 v85, 0xffff0000, v85
	v_cvt_f16_f32_e32 v113, v85
	v_cvt_f16_f32_e32 v112, v112
	v_pack_b32_f16 v125, v82, v83
	v_pack_b32_f16 v103, v103, v84
	global_load_dwordx4 v[82:85], v[106:107], off offset:384
	v_pk_fma_f16 v107, v120, v102, v116 op_sel_hi:[0,1,1]
	v_pack_b32_f16 v106, v112, v113
	v_pk_fma_f16 v113, v120, v103, v114 op_sel_hi:[0,1,1]
	v_pk_fma_f16 v106, v120, v106, v115 op_sel_hi:[0,1,1]
	;; [unrolled: 1-line block ×3, first 2 shown]
	s_waitcnt vmcnt(3)
	v_lshlrev_b32_e32 v102, 16, v78
	v_and_b32_e32 v78, 0xffff0000, v78
	v_cvt_f16_f32_e32 v78, v78
	v_cvt_f16_f32_e32 v102, v102
	v_lshlrev_b32_e32 v103, 16, v79
	v_and_b32_e32 v79, 0xffff0000, v79
	v_cvt_f16_f32_e32 v79, v79
	v_cvt_f16_f32_e32 v103, v103
	v_lshlrev_b32_e32 v114, 16, v80
	v_and_b32_e32 v80, 0xffff0000, v80
	v_lshlrev_b32_e32 v115, 16, v81
	v_and_b32_e32 v81, 0xffff0000, v81
	v_pack_b32_f16 v116, v102, v78
	v_cvt_f16_f32_e32 v80, v80
	v_cvt_f16_f32_e32 v114, v114
	;; [unrolled: 1-line block ×4, first 2 shown]
	s_waitcnt lgkmcnt(5)
	v_pk_fma_f16 v116, v101, v116, v118 op_sel_hi:[0,1,1]
	v_pack_b32_f16 v117, v103, v79
	s_waitcnt vmcnt(2)
	v_lshlrev_b32_e32 v118, 16, v86
	v_and_b32_e32 v86, 0xffff0000, v86
	v_cvt_f16_f32_e32 v86, v86
	v_cvt_f16_f32_e32 v118, v118
	v_lshl_add_u64 v[78:79], s[20:21], 0, v[52:53]
	v_lshl_add_u64 v[102:103], v[78:79], 0, v[36:37]
	v_pack_b32_f16 v114, v114, v80
	v_pack_b32_f16 v115, v115, v81
	global_load_dwordx4 v[78:81], v[102:103], off
	v_pk_fma_f16 v117, v101, v117, v119 op_sel_hi:[0,1,1]
	v_pack_b32_f16 v118, v118, v86
	v_lshlrev_b32_e32 v86, 16, v87
	v_and_b32_e32 v87, 0xffff0000, v87
	v_lshlrev_b32_e32 v119, 16, v88
	v_and_b32_e32 v88, 0xffff0000, v88
	v_cvt_f16_f32_e32 v87, v87
	v_cvt_f16_f32_e32 v86, v86
	;; [unrolled: 1-line block ×4, first 2 shown]
	v_lshlrev_b32_e32 v120, 16, v89
	v_and_b32_e32 v89, 0xffff0000, v89
	v_pk_fma_f16 v108, v101, v118, v108 op_sel_hi:[0,1,1]
	s_waitcnt vmcnt(2)
	v_lshlrev_b32_e32 v118, 16, v90
	v_and_b32_e32 v90, 0xffff0000, v90
	v_pk_fma_f16 v114, v101, v114, v121 op_sel_hi:[0,1,1]
	v_cvt_f16_f32_e32 v121, v89
	v_cvt_f16_f32_e32 v120, v120
	;; [unrolled: 1-line block ×4, first 2 shown]
	v_pk_fma_f16 v115, v101, v115, v122 op_sel_hi:[0,1,1]
	v_pack_b32_f16 v122, v86, v87
	v_pack_b32_f16 v119, v119, v88
	global_load_dwordx4 v[86:89], v[102:103], off offset:128
	v_pack_b32_f16 v120, v120, v121
	v_pack_b32_f16 v118, v118, v90
	v_lshlrev_b32_e32 v90, 16, v91
	v_and_b32_e32 v91, 0xffff0000, v91
	v_lshlrev_b32_e32 v121, 16, v92
	v_and_b32_e32 v92, 0xffff0000, v92
	v_cvt_f16_f32_e32 v91, v91
	v_cvt_f16_f32_e32 v90, v90
	;; [unrolled: 1-line block ×4, first 2 shown]
	v_pk_fma_f16 v109, v101, v122, v109 op_sel_hi:[0,1,1]
	v_lshlrev_b32_e32 v122, 16, v93
	v_and_b32_e32 v93, 0xffff0000, v93
	v_pk_fma_f16 v119, v101, v119, v123 op_sel_hi:[0,1,1]
	v_pk_fma_f16 v120, v101, v120, v124 op_sel_hi:[0,1,1]
	v_cvt_f16_f32_e32 v123, v93
	v_pack_b32_f16 v124, v90, v91
	v_pack_b32_f16 v121, v121, v92
	global_load_dwordx4 v[90:93], v[102:103], off offset:256
	v_cvt_f16_f32_e32 v122, v122
	v_pk_fma_f16 v104, v101, v118, v104 op_sel_hi:[0,1,1]
	s_waitcnt vmcnt(3)
	v_lshlrev_b32_e32 v118, 16, v82
	v_and_b32_e32 v82, 0xffff0000, v82
	v_cvt_f16_f32_e32 v82, v82
	v_cvt_f16_f32_e32 v118, v118
	v_pack_b32_f16 v122, v122, v123
	v_pk_fma_f16 v110, v101, v121, v110 op_sel_hi:[0,1,1]
	v_pk_fma_f16 v111, v101, v122, v111 op_sel_hi:[0,1,1]
	v_pack_b32_f16 v118, v118, v82
	v_lshlrev_b32_e32 v82, 16, v83
	v_and_b32_e32 v83, 0xffff0000, v83
	v_lshlrev_b32_e32 v121, 16, v84
	v_and_b32_e32 v84, 0xffff0000, v84
	;; [unrolled: 2-line block ×3, first 2 shown]
	v_cvt_f16_f32_e32 v83, v83
	v_cvt_f16_f32_e32 v82, v82
	;; [unrolled: 1-line block ×6, first 2 shown]
	v_pk_fma_f16 v105, v101, v124, v105 op_sel_hi:[0,1,1]
	v_pack_b32_f16 v124, v82, v83
	v_pack_b32_f16 v121, v121, v84
	global_load_dwordx4 v[82:85], v[102:103], off offset:384
	v_pack_b32_f16 v102, v122, v123
	v_pk_fma_f16 v107, v101, v118, v107 op_sel_hi:[0,1,1]
	v_pk_fma_f16 v112, v101, v124, v112 op_sel_hi:[0,1,1]
	v_pk_fma_f16 v113, v101, v121, v113 op_sel_hi:[0,1,1]
	v_pk_fma_f16 v101, v101, v102, v106 op_sel_hi:[0,1,1]
	s_waitcnt vmcnt(3)
	v_lshlrev_b32_e32 v102, 16, v78
	v_and_b32_e32 v78, 0xffff0000, v78
	v_cvt_f16_f32_e32 v78, v78
	v_cvt_f16_f32_e32 v102, v102
	v_lshlrev_b32_e32 v103, 16, v79
	v_and_b32_e32 v79, 0xffff0000, v79
	v_cvt_f16_f32_e32 v79, v79
	v_cvt_f16_f32_e32 v103, v103
	v_lshlrev_b32_e32 v106, 16, v80
	v_and_b32_e32 v80, 0xffff0000, v80
	v_lshlrev_b32_e32 v118, 16, v81
	v_and_b32_e32 v81, 0xffff0000, v81
	v_pack_b32_f16 v121, v102, v78
	v_cvt_f16_f32_e32 v80, v80
	v_cvt_f16_f32_e32 v106, v106
	;; [unrolled: 1-line block ×4, first 2 shown]
	s_waitcnt lgkmcnt(4)
	v_pk_fma_f16 v116, v100, v121, v116 op_sel_hi:[0,1,1]
	v_pack_b32_f16 v122, v103, v79
	v_lshl_add_u64 v[78:79], s[20:21], 0, v[54:55]
	v_lshl_add_u64 v[102:103], v[78:79], 0, v[36:37]
	v_pack_b32_f16 v106, v106, v80
	v_pack_b32_f16 v118, v118, v81
	global_load_dwordx4 v[78:81], v[102:103], off
	s_waitcnt vmcnt(3)
	v_lshlrev_b32_e32 v121, 16, v86
	v_and_b32_e32 v86, 0xffff0000, v86
	v_cvt_f16_f32_e32 v86, v86
	v_cvt_f16_f32_e32 v121, v121
	v_pk_fma_f16 v106, v100, v106, v114 op_sel_hi:[0,1,1]
	v_pk_fma_f16 v114, v100, v118, v115 op_sel_hi:[0,1,1]
	v_lshlrev_b32_e32 v118, 16, v88
	v_pack_b32_f16 v115, v121, v86
	v_lshlrev_b32_e32 v86, 16, v87
	v_and_b32_e32 v87, 0xffff0000, v87
	v_and_b32_e32 v88, 0xffff0000, v88
	v_lshlrev_b32_e32 v121, 16, v89
	v_and_b32_e32 v89, 0xffff0000, v89
	v_pk_fma_f16 v117, v100, v122, v117 op_sel_hi:[0,1,1]
	v_cvt_f16_f32_e32 v87, v87
	v_cvt_f16_f32_e32 v86, v86
	;; [unrolled: 1-line block ×6, first 2 shown]
	v_pk_fma_f16 v108, v100, v115, v108 op_sel_hi:[0,1,1]
	s_waitcnt vmcnt(2)
	v_lshlrev_b32_e32 v115, 16, v90
	v_and_b32_e32 v90, 0xffff0000, v90
	v_cvt_f16_f32_e32 v90, v90
	v_cvt_f16_f32_e32 v115, v115
	v_pack_b32_f16 v123, v86, v87
	v_pack_b32_f16 v118, v118, v88
	global_load_dwordx4 v[86:89], v[102:103], off offset:128
	v_pack_b32_f16 v121, v121, v122
	v_pk_fma_f16 v118, v100, v118, v119 op_sel_hi:[0,1,1]
	v_pk_fma_f16 v119, v100, v121, v120 op_sel_hi:[0,1,1]
	v_pack_b32_f16 v115, v115, v90
	v_lshlrev_b32_e32 v90, 16, v91
	v_and_b32_e32 v91, 0xffff0000, v91
	v_lshlrev_b32_e32 v120, 16, v92
	v_and_b32_e32 v92, 0xffff0000, v92
	v_cvt_f16_f32_e32 v91, v91
	v_cvt_f16_f32_e32 v90, v90
	;; [unrolled: 1-line block ×4, first 2 shown]
	v_lshlrev_b32_e32 v121, 16, v93
	v_and_b32_e32 v93, 0xffff0000, v93
	v_pk_fma_f16 v109, v100, v123, v109 op_sel_hi:[0,1,1]
	v_cvt_f16_f32_e32 v122, v93
	v_pack_b32_f16 v123, v90, v91
	v_pack_b32_f16 v120, v120, v92
	global_load_dwordx4 v[90:93], v[102:103], off offset:256
	v_cvt_f16_f32_e32 v121, v121
	v_pk_fma_f16 v104, v100, v115, v104 op_sel_hi:[0,1,1]
	s_waitcnt vmcnt(3)
	v_lshlrev_b32_e32 v115, 16, v82
	v_and_b32_e32 v82, 0xffff0000, v82
	v_cvt_f16_f32_e32 v82, v82
	v_cvt_f16_f32_e32 v115, v115
	v_pack_b32_f16 v121, v121, v122
	v_pk_fma_f16 v110, v100, v120, v110 op_sel_hi:[0,1,1]
	v_pk_fma_f16 v111, v100, v121, v111 op_sel_hi:[0,1,1]
	v_pack_b32_f16 v115, v115, v82
	v_lshlrev_b32_e32 v82, 16, v83
	v_and_b32_e32 v83, 0xffff0000, v83
	v_lshlrev_b32_e32 v120, 16, v84
	v_and_b32_e32 v84, 0xffff0000, v84
	;; [unrolled: 2-line block ×3, first 2 shown]
	v_cvt_f16_f32_e32 v83, v83
	v_cvt_f16_f32_e32 v82, v82
	v_cvt_f16_f32_e32 v84, v84
	v_cvt_f16_f32_e32 v120, v120
	v_cvt_f16_f32_e32 v122, v85
	v_cvt_f16_f32_e32 v121, v121
	v_pk_fma_f16 v105, v100, v123, v105 op_sel_hi:[0,1,1]
	v_pack_b32_f16 v123, v82, v83
	v_pack_b32_f16 v120, v120, v84
	global_load_dwordx4 v[82:85], v[102:103], off offset:384
	v_pack_b32_f16 v102, v121, v122
	v_pk_fma_f16 v103, v100, v115, v107 op_sel_hi:[0,1,1]
	v_pk_fma_f16 v107, v100, v123, v112 op_sel_hi:[0,1,1]
	;; [unrolled: 1-line block ×4, first 2 shown]
	s_waitcnt vmcnt(3)
	v_lshlrev_b32_e32 v100, 16, v78
	v_and_b32_e32 v78, 0xffff0000, v78
	v_cvt_f16_f32_e32 v78, v78
	v_cvt_f16_f32_e32 v100, v100
	v_lshlrev_b32_e32 v101, 16, v79
	v_and_b32_e32 v79, 0xffff0000, v79
	v_cvt_f16_f32_e32 v79, v79
	v_cvt_f16_f32_e32 v101, v101
	v_lshlrev_b32_e32 v113, 16, v80
	v_and_b32_e32 v80, 0xffff0000, v80
	v_lshlrev_b32_e32 v115, 16, v81
	v_and_b32_e32 v81, 0xffff0000, v81
	v_pack_b32_f16 v120, v100, v78
	v_cvt_f16_f32_e32 v80, v80
	v_cvt_f16_f32_e32 v113, v113
	;; [unrolled: 1-line block ×4, first 2 shown]
	s_waitcnt lgkmcnt(3)
	v_pk_fma_f16 v116, v99, v120, v116 op_sel_hi:[0,1,1]
	v_pack_b32_f16 v121, v101, v79
	v_lshl_add_u64 v[78:79], s[20:21], 0, v[56:57]
	v_lshl_add_u64 v[100:101], v[78:79], 0, v[36:37]
	v_pack_b32_f16 v113, v113, v80
	v_pack_b32_f16 v115, v115, v81
	global_load_dwordx4 v[78:81], v[100:101], off
	v_pk_fma_f16 v106, v99, v113, v106 op_sel_hi:[0,1,1]
	v_pk_fma_f16 v113, v99, v115, v114 op_sel_hi:[0,1,1]
	;; [unrolled: 1-line block ×3, first 2 shown]
	s_waitcnt vmcnt(3)
	v_lshlrev_b32_e32 v120, 16, v86
	v_and_b32_e32 v86, 0xffff0000, v86
	v_cvt_f16_f32_e32 v86, v86
	v_cvt_f16_f32_e32 v120, v120
	v_lshlrev_b32_e32 v115, 16, v88
	v_and_b32_e32 v88, 0xffff0000, v88
	v_cvt_f16_f32_e32 v88, v88
	v_pack_b32_f16 v114, v120, v86
	v_lshlrev_b32_e32 v86, 16, v87
	v_and_b32_e32 v87, 0xffff0000, v87
	v_lshlrev_b32_e32 v120, 16, v89
	v_and_b32_e32 v89, 0xffff0000, v89
	v_cvt_f16_f32_e32 v87, v87
	v_cvt_f16_f32_e32 v86, v86
	;; [unrolled: 1-line block ×5, first 2 shown]
	v_pk_fma_f16 v108, v99, v114, v108 op_sel_hi:[0,1,1]
	v_pack_b32_f16 v122, v86, v87
	s_waitcnt vmcnt(2)
	v_lshlrev_b32_e32 v114, 16, v90
	v_and_b32_e32 v90, 0xffff0000, v90
	v_cvt_f16_f32_e32 v90, v90
	v_cvt_f16_f32_e32 v114, v114
	v_pack_b32_f16 v115, v115, v88
	global_load_dwordx4 v[86:89], v[100:101], off offset:128
	v_pack_b32_f16 v120, v120, v121
	v_pk_fma_f16 v115, v99, v115, v118 op_sel_hi:[0,1,1]
	v_pk_fma_f16 v118, v99, v120, v119 op_sel_hi:[0,1,1]
	v_pack_b32_f16 v114, v114, v90
	v_lshlrev_b32_e32 v90, 16, v91
	v_and_b32_e32 v91, 0xffff0000, v91
	v_lshlrev_b32_e32 v119, 16, v92
	v_and_b32_e32 v92, 0xffff0000, v92
	v_cvt_f16_f32_e32 v91, v91
	v_cvt_f16_f32_e32 v90, v90
	;; [unrolled: 1-line block ×4, first 2 shown]
	v_lshlrev_b32_e32 v120, 16, v93
	v_and_b32_e32 v93, 0xffff0000, v93
	v_pk_fma_f16 v109, v99, v122, v109 op_sel_hi:[0,1,1]
	v_cvt_f16_f32_e32 v121, v93
	v_pack_b32_f16 v122, v90, v91
	v_pack_b32_f16 v119, v119, v92
	global_load_dwordx4 v[90:93], v[100:101], off offset:256
	v_cvt_f16_f32_e32 v120, v120
	v_pk_fma_f16 v104, v99, v114, v104 op_sel_hi:[0,1,1]
	s_waitcnt vmcnt(3)
	v_lshlrev_b32_e32 v114, 16, v82
	v_and_b32_e32 v82, 0xffff0000, v82
	v_cvt_f16_f32_e32 v82, v82
	v_cvt_f16_f32_e32 v114, v114
	v_pack_b32_f16 v120, v120, v121
	v_pk_fma_f16 v110, v99, v119, v110 op_sel_hi:[0,1,1]
	v_pk_fma_f16 v111, v99, v120, v111 op_sel_hi:[0,1,1]
	v_pack_b32_f16 v114, v114, v82
	v_lshlrev_b32_e32 v82, 16, v83
	v_and_b32_e32 v83, 0xffff0000, v83
	v_lshlrev_b32_e32 v119, 16, v84
	v_and_b32_e32 v84, 0xffff0000, v84
	;; [unrolled: 2-line block ×3, first 2 shown]
	v_cvt_f16_f32_e32 v83, v83
	v_cvt_f16_f32_e32 v82, v82
	;; [unrolled: 1-line block ×6, first 2 shown]
	v_pk_fma_f16 v105, v99, v122, v105 op_sel_hi:[0,1,1]
	v_pack_b32_f16 v122, v82, v83
	v_pack_b32_f16 v119, v119, v84
	global_load_dwordx4 v[82:85], v[100:101], off offset:384
	v_pack_b32_f16 v100, v120, v121
	v_pk_fma_f16 v103, v99, v114, v103 op_sel_hi:[0,1,1]
	v_pk_fma_f16 v107, v99, v122, v107 op_sel_hi:[0,1,1]
	;; [unrolled: 1-line block ×4, first 2 shown]
	s_waitcnt vmcnt(3)
	v_lshlrev_b32_e32 v100, 16, v78
	v_and_b32_e32 v78, 0xffff0000, v78
	v_cvt_f16_f32_e32 v78, v78
	v_cvt_f16_f32_e32 v100, v100
	v_lshlrev_b32_e32 v101, 16, v79
	v_and_b32_e32 v79, 0xffff0000, v79
	v_cvt_f16_f32_e32 v79, v79
	v_cvt_f16_f32_e32 v101, v101
	v_lshlrev_b32_e32 v102, 16, v80
	v_and_b32_e32 v80, 0xffff0000, v80
	v_lshlrev_b32_e32 v114, 16, v81
	v_and_b32_e32 v81, 0xffff0000, v81
	v_pack_b32_f16 v119, v100, v78
	v_cvt_f16_f32_e32 v80, v80
	v_cvt_f16_f32_e32 v102, v102
	;; [unrolled: 1-line block ×4, first 2 shown]
	s_waitcnt lgkmcnt(2)
	v_pk_fma_f16 v116, v98, v119, v116 op_sel_hi:[0,1,1]
	v_pack_b32_f16 v120, v101, v79
	v_lshl_add_u64 v[78:79], s[20:21], 0, v[58:59]
	v_lshl_add_u64 v[100:101], v[78:79], 0, v[36:37]
	v_pack_b32_f16 v102, v102, v80
	v_pack_b32_f16 v114, v114, v81
	global_load_dwordx4 v[78:81], v[100:101], off
	v_pk_fma_f16 v106, v98, v102, v106 op_sel_hi:[0,1,1]
	v_pk_fma_f16 v113, v98, v114, v113 op_sel_hi:[0,1,1]
	;; [unrolled: 1-line block ×3, first 2 shown]
	s_waitcnt vmcnt(3)
	v_lshlrev_b32_e32 v119, 16, v86
	v_and_b32_e32 v86, 0xffff0000, v86
	v_cvt_f16_f32_e32 v86, v86
	v_cvt_f16_f32_e32 v119, v119
	v_lshlrev_b32_e32 v114, 16, v88
	v_and_b32_e32 v88, 0xffff0000, v88
	v_cvt_f16_f32_e32 v88, v88
	v_pack_b32_f16 v102, v119, v86
	v_lshlrev_b32_e32 v86, 16, v87
	v_and_b32_e32 v87, 0xffff0000, v87
	v_lshlrev_b32_e32 v119, 16, v89
	v_and_b32_e32 v89, 0xffff0000, v89
	v_cvt_f16_f32_e32 v87, v87
	v_cvt_f16_f32_e32 v86, v86
	;; [unrolled: 1-line block ×5, first 2 shown]
	v_pk_fma_f16 v108, v98, v102, v108 op_sel_hi:[0,1,1]
	v_pack_b32_f16 v121, v86, v87
	s_waitcnt vmcnt(2)
	v_lshlrev_b32_e32 v102, 16, v90
	v_and_b32_e32 v90, 0xffff0000, v90
	v_cvt_f16_f32_e32 v90, v90
	v_cvt_f16_f32_e32 v102, v102
	v_pack_b32_f16 v114, v114, v88
	global_load_dwordx4 v[86:89], v[100:101], off offset:128
	v_pack_b32_f16 v119, v119, v120
	v_pk_fma_f16 v114, v98, v114, v115 op_sel_hi:[0,1,1]
	v_pk_fma_f16 v115, v98, v119, v118 op_sel_hi:[0,1,1]
	v_pack_b32_f16 v102, v102, v90
	v_lshlrev_b32_e32 v90, 16, v91
	v_and_b32_e32 v91, 0xffff0000, v91
	v_lshlrev_b32_e32 v118, 16, v92
	v_and_b32_e32 v92, 0xffff0000, v92
	v_cvt_f16_f32_e32 v91, v91
	v_cvt_f16_f32_e32 v90, v90
	;; [unrolled: 1-line block ×4, first 2 shown]
	v_lshlrev_b32_e32 v119, 16, v93
	v_and_b32_e32 v93, 0xffff0000, v93
	v_pk_fma_f16 v109, v98, v121, v109 op_sel_hi:[0,1,1]
	v_cvt_f16_f32_e32 v120, v93
	v_pack_b32_f16 v121, v90, v91
	v_pack_b32_f16 v118, v118, v92
	global_load_dwordx4 v[90:93], v[100:101], off offset:256
	v_cvt_f16_f32_e32 v119, v119
	v_pk_fma_f16 v104, v98, v102, v104 op_sel_hi:[0,1,1]
	s_waitcnt vmcnt(3)
	v_lshlrev_b32_e32 v102, 16, v82
	v_and_b32_e32 v82, 0xffff0000, v82
	v_cvt_f16_f32_e32 v82, v82
	v_cvt_f16_f32_e32 v102, v102
	v_pack_b32_f16 v119, v119, v120
	v_pk_fma_f16 v110, v98, v118, v110 op_sel_hi:[0,1,1]
	v_pk_fma_f16 v111, v98, v119, v111 op_sel_hi:[0,1,1]
	v_pack_b32_f16 v102, v102, v82
	v_lshlrev_b32_e32 v82, 16, v83
	v_and_b32_e32 v83, 0xffff0000, v83
	v_lshlrev_b32_e32 v118, 16, v84
	v_and_b32_e32 v84, 0xffff0000, v84
	;; [unrolled: 2-line block ×3, first 2 shown]
	v_cvt_f16_f32_e32 v83, v83
	v_cvt_f16_f32_e32 v82, v82
	;; [unrolled: 1-line block ×6, first 2 shown]
	v_pk_fma_f16 v105, v98, v121, v105 op_sel_hi:[0,1,1]
	v_pack_b32_f16 v121, v82, v83
	v_pack_b32_f16 v118, v118, v84
	global_load_dwordx4 v[82:85], v[100:101], off offset:384
	v_pack_b32_f16 v100, v119, v120
	v_pk_fma_f16 v119, v98, v102, v103 op_sel_hi:[0,1,1]
	v_pk_fma_f16 v107, v98, v121, v107 op_sel_hi:[0,1,1]
	;; [unrolled: 1-line block ×4, first 2 shown]
	s_waitcnt vmcnt(3)
	v_lshlrev_b32_e32 v98, 16, v78
	v_and_b32_e32 v78, 0xffff0000, v78
	v_cvt_f16_f32_e32 v78, v78
	v_cvt_f16_f32_e32 v98, v98
	v_lshlrev_b32_e32 v99, 16, v79
	v_and_b32_e32 v79, 0xffff0000, v79
	v_cvt_f16_f32_e32 v79, v79
	v_cvt_f16_f32_e32 v99, v99
	v_lshlrev_b32_e32 v100, 16, v80
	v_and_b32_e32 v80, 0xffff0000, v80
	v_lshlrev_b32_e32 v101, 16, v81
	v_and_b32_e32 v81, 0xffff0000, v81
	v_pack_b32_f16 v98, v98, v78
	v_cvt_f16_f32_e32 v80, v80
	v_cvt_f16_f32_e32 v100, v100
	v_cvt_f16_f32_e32 v81, v81
	v_cvt_f16_f32_e32 v101, v101
	s_waitcnt lgkmcnt(1)
	v_pk_fma_f16 v116, v97, v98, v116 op_sel_hi:[0,1,1]
	v_pack_b32_f16 v99, v99, v79
	v_lshl_add_u64 v[78:79], s[20:21], 0, v[60:61]
	v_lshl_add_u64 v[102:103], v[78:79], 0, v[36:37]
	v_pack_b32_f16 v100, v100, v80
	v_pack_b32_f16 v101, v101, v81
	global_load_dwordx4 v[78:81], v[102:103], off
	v_pk_fma_f16 v117, v97, v99, v117 op_sel_hi:[0,1,1]
	v_pk_fma_f16 v106, v97, v100, v106 op_sel_hi:[0,1,1]
	;; [unrolled: 1-line block ×3, first 2 shown]
	s_add_u32 s20, s20, s39
	s_addc_u32 s21, s21, 0
	s_waitcnt vmcnt(3)
	v_lshlrev_b32_e32 v98, 16, v86
	v_and_b32_e32 v86, 0xffff0000, v86
	v_cvt_f16_f32_e32 v86, v86
	v_cvt_f16_f32_e32 v98, v98
	v_lshlrev_b32_e32 v99, 16, v88
	v_and_b32_e32 v88, 0xffff0000, v88
	v_cvt_f16_f32_e32 v88, v88
	v_pack_b32_f16 v98, v98, v86
	v_lshlrev_b32_e32 v86, 16, v87
	v_and_b32_e32 v87, 0xffff0000, v87
	v_cvt_f16_f32_e32 v87, v87
	v_cvt_f16_f32_e32 v86, v86
	;; [unrolled: 1-line block ×3, first 2 shown]
	v_pk_fma_f16 v108, v97, v98, v108 op_sel_hi:[0,1,1]
	v_lshlrev_b32_e32 v100, 16, v89
	v_and_b32_e32 v89, 0xffff0000, v89
	v_cvt_f16_f32_e32 v101, v89
	v_pack_b32_f16 v120, v86, v87
	v_pack_b32_f16 v99, v99, v88
	global_load_dwordx4 v[86:89], v[102:103], off offset:128
	s_waitcnt vmcnt(3)
	v_lshlrev_b32_e32 v98, 16, v90
	v_and_b32_e32 v90, 0xffff0000, v90
	v_cvt_f16_f32_e32 v90, v90
	v_cvt_f16_f32_e32 v98, v98
	;; [unrolled: 1-line block ×3, first 2 shown]
	v_pk_fma_f16 v114, v97, v99, v114 op_sel_hi:[0,1,1]
	v_lshlrev_b32_e32 v99, 16, v92
	v_pack_b32_f16 v90, v98, v90
	v_lshlrev_b32_e32 v98, 16, v91
	v_and_b32_e32 v91, 0xffff0000, v91
	v_cvt_f16_f32_e32 v91, v91
	v_cvt_f16_f32_e32 v98, v98
	v_pack_b32_f16 v100, v100, v101
	v_pk_fma_f16 v109, v97, v120, v109 op_sel_hi:[0,1,1]
	v_cvt_f16_f32_e32 v120, v99
	v_lshlrev_b32_e32 v99, 16, v93
	v_pk_fma_f16 v115, v97, v100, v115 op_sel_hi:[0,1,1]
	v_cvt_f16_f32_e32 v121, v99
	v_pack_b32_f16 v91, v98, v91
	global_load_dwordx4 v[98:101], v[102:103], off offset:256
	v_and_b32_e32 v92, 0xffff0000, v92
	v_and_b32_e32 v93, 0xffff0000, v93
	v_cvt_f16_f32_e32 v92, v92
	v_cvt_f16_f32_e32 v93, v93
	s_lshl_b64 s[46:47], s[26:27], 1
	s_add_u32 s18, s18, s46
	v_pack_b32_f16 v92, v120, v92
	v_pack_b32_f16 v93, v121, v93
	v_pk_fma_f16 v120, v97, v90, v104 op_sel_hi:[0,1,1]
	v_pk_fma_f16 v121, v97, v91, v105 op_sel_hi:[0,1,1]
	global_load_dwordx4 v[102:105], v[102:103], off offset:384
	s_waitcnt vmcnt(4)
	v_lshlrev_b32_e32 v90, 16, v82
	v_and_b32_e32 v82, 0xffff0000, v82
	v_cvt_f16_f32_e32 v82, v82
	v_cvt_f16_f32_e32 v90, v90
	v_pk_fma_f16 v110, v97, v92, v110 op_sel_hi:[0,1,1]
	v_lshlrev_b32_e32 v91, 16, v84
	v_and_b32_e32 v84, 0xffff0000, v84
	v_pack_b32_f16 v82, v90, v82
	v_lshlrev_b32_e32 v90, 16, v83
	v_and_b32_e32 v83, 0xffff0000, v83
	v_lshlrev_b32_e32 v92, 16, v85
	v_and_b32_e32 v85, 0xffff0000, v85
	v_cvt_f16_f32_e32 v83, v83
	v_cvt_f16_f32_e32 v90, v90
	;; [unrolled: 1-line block ×6, first 2 shown]
	v_pack_b32_f16 v83, v90, v83
	v_pack_b32_f16 v84, v91, v84
	v_pk_fma_f16 v111, v97, v93, v111 op_sel_hi:[0,1,1]
	v_pack_b32_f16 v85, v92, v85
	v_pk_fma_f16 v82, v97, v82, v119 op_sel_hi:[0,1,1]
	v_pk_fma_f16 v107, v97, v83, v107 op_sel_hi:[0,1,1]
	;; [unrolled: 1-line block ×4, first 2 shown]
	s_waitcnt vmcnt(3)
	v_lshlrev_b32_e32 v83, 16, v78
	v_and_b32_e32 v78, 0xffff0000, v78
	v_lshlrev_b32_e32 v84, 16, v79
	v_and_b32_e32 v79, 0xffff0000, v79
	;; [unrolled: 2-line block ×4, first 2 shown]
	v_cvt_f16_f32_e32 v78, v78
	v_cvt_f16_f32_e32 v83, v83
	;; [unrolled: 1-line block ×8, first 2 shown]
	v_pack_b32_f16 v78, v83, v78
	v_pack_b32_f16 v79, v84, v79
	;; [unrolled: 1-line block ×4, first 2 shown]
	s_waitcnt lgkmcnt(0)
	v_pk_fma_f16 v93, v96, v78, v116 op_sel_hi:[0,1,1]
	v_pk_fma_f16 v92, v96, v79, v117 op_sel_hi:[0,1,1]
	;; [unrolled: 1-line block ×4, first 2 shown]
	s_waitcnt vmcnt(2)
	v_lshlrev_b32_e32 v78, 16, v86
	v_and_b32_e32 v79, 0xffff0000, v86
	v_lshlrev_b32_e32 v80, 16, v87
	v_and_b32_e32 v81, 0xffff0000, v87
	;; [unrolled: 2-line block ×4, first 2 shown]
	v_cvt_f16_f32_e32 v79, v79
	v_cvt_f16_f32_e32 v78, v78
	;; [unrolled: 1-line block ×8, first 2 shown]
	v_pack_b32_f16 v78, v78, v79
	v_pack_b32_f16 v79, v80, v81
	;; [unrolled: 1-line block ×4, first 2 shown]
	v_pk_fma_f16 v89, v96, v78, v108 op_sel_hi:[0,1,1]
	v_pk_fma_f16 v88, v96, v79, v109 op_sel_hi:[0,1,1]
	;; [unrolled: 1-line block ×4, first 2 shown]
	s_waitcnt vmcnt(1)
	v_lshlrev_b32_e32 v78, 16, v98
	v_and_b32_e32 v79, 0xffff0000, v98
	v_lshlrev_b32_e32 v80, 16, v99
	v_and_b32_e32 v81, 0xffff0000, v99
	;; [unrolled: 2-line block ×3, first 2 shown]
	v_cvt_f16_f32_e32 v79, v79
	v_cvt_f16_f32_e32 v78, v78
	;; [unrolled: 1-line block ×6, first 2 shown]
	v_lshlrev_b32_e32 v85, 16, v101
	v_and_b32_e32 v98, 0xffff0000, v101
	v_cvt_f16_f32_e32 v98, v98
	v_cvt_f16_f32_e32 v85, v85
	v_pack_b32_f16 v78, v78, v79
	v_pack_b32_f16 v79, v80, v81
	;; [unrolled: 1-line block ×4, first 2 shown]
	v_pk_fma_f16 v85, v96, v78, v120 op_sel_hi:[0,1,1]
	v_pk_fma_f16 v84, v96, v79, v121 op_sel_hi:[0,1,1]
	;; [unrolled: 1-line block ×3, first 2 shown]
	s_waitcnt vmcnt(0)
	v_lshlrev_b32_e32 v78, 16, v102
	v_and_b32_e32 v79, 0xffff0000, v102
	v_lshlrev_b32_e32 v80, 16, v103
	v_and_b32_e32 v98, 0xffff0000, v103
	;; [unrolled: 2-line block ×4, first 2 shown]
	v_cvt_f16_f32_e32 v79, v79
	v_cvt_f16_f32_e32 v78, v78
	;; [unrolled: 1-line block ×8, first 2 shown]
	v_pack_b32_f16 v78, v78, v79
	v_pack_b32_f16 v79, v80, v98
	;; [unrolled: 1-line block ×4, first 2 shown]
	s_addc_u32 s19, s19, s47
	v_pk_fma_f16 v81, v96, v81, v111 op_sel_hi:[0,1,1]
	v_pk_fma_f16 v82, v96, v78, v82 op_sel_hi:[0,1,1]
	v_pk_fma_f16 v80, v96, v79, v107 op_sel_hi:[0,1,1]
	v_pk_fma_f16 v79, v96, v98, v112 op_sel_hi:[0,1,1]
	v_pk_fma_f16 v78, v96, v99, v97 op_sel_hi:[0,1,1]
	s_cmp_ge_i32 s16, s42
	s_cbranch_scc1 .LBB23_25
; %bb.24:                               ;   in Loop: Header=BB23_15 Depth=1
	v_mov_b32_e32 v95, v94
	s_branch .LBB23_15
.LBB23_25:
	s_cmp_lg_u64 s[24:25], 0
	v_or_b32_e32 v0, s3, v62
	s_cselect_b64 s[4:5], -1, 0
	v_cmp_eq_u32_e32 vcc, 0, v0
	s_and_b64 s[6:7], vcc, s[4:5]
	s_and_saveexec_b64 s[4:5], s[6:7]
	s_cbranch_execz .LBB23_27
; %bb.26:
	s_lshl_b64 s[6:7], s[40:41], 2
	s_add_u32 s6, s24, s6
	s_addc_u32 s7, s25, s7
	s_load_dword s6, s[6:7], 0x0
	v_max_f32_e32 v0, v94, v94
	s_mov_b32 s7, 0x3fb8aa3b
	s_mov_b32 s8, 0xc2ce8ed0
	;; [unrolled: 1-line block ×3, first 2 shown]
	s_waitcnt lgkmcnt(0)
	v_max_f32_e64 v1, s6, s6
	v_max_f32_e32 v0, v1, v0
	v_sub_f32_e32 v1, v94, v0
	v_mul_f32_e32 v2, 0x3fb8aa3b, v1
	v_fma_f32 v3, v1, s7, -v2
	v_rndne_f32_e32 v4, v2
	v_fmac_f32_e32 v3, 0x32a5705f, v1
	v_sub_f32_e32 v2, v2, v4
	v_add_f32_e32 v2, v2, v3
	v_cvt_i32_f32_e32 v3, v4
	v_exp_f32_e32 v2, v2
	v_cmp_ngt_f32_e32 vcc, s8, v1
	v_mov_b32_e32 v94, v0
	v_ldexp_f32 v2, v2, v3
	v_sub_f32_e32 v3, s6, v0
	v_mul_f32_e32 v4, 0x3fb8aa3b, v3
	v_fma_f32 v5, v3, s7, -v4
	v_rndne_f32_e32 v6, v4
	v_fmac_f32_e32 v5, 0x32a5705f, v3
	v_sub_f32_e32 v4, v4, v6
	v_add_f32_e32 v4, v4, v5
	v_exp_f32_e32 v4, v4
	v_cvt_i32_f32_e32 v5, v6
	v_cndmask_b32_e32 v2, 0, v2, vcc
	v_mov_b32_e32 v6, 0x7f800000
	v_cmp_nlt_f32_e32 vcc, s9, v1
	s_nop 1
	v_cndmask_b32_e32 v1, v6, v2, vcc
	v_ldexp_f32 v2, v4, v5
	v_cmp_ngt_f32_e32 vcc, s8, v3
	v_cvt_f16_f32_e32 v4, v1
	v_pk_mul_f16 v93, v4, v93 op_sel_hi:[0,1]
	v_cndmask_b32_e32 v2, 0, v2, vcc
	v_cmp_nlt_f32_e32 vcc, s9, v3
	v_pk_mul_f16 v92, v4, v92 op_sel_hi:[0,1]
	v_pk_mul_f16 v91, v4, v91 op_sel_hi:[0,1]
	v_cndmask_b32_e32 v2, v6, v2, vcc
	v_cmp_eq_u32_e32 vcc, 0, v63
	v_pk_mul_f16 v90, v4, v90 op_sel_hi:[0,1]
	v_pk_mul_f16 v89, v4, v89 op_sel_hi:[0,1]
	v_cndmask_b32_e32 v2, 0, v2, vcc
	v_fmac_f32_e32 v2, v68, v1
	v_pk_mul_f16 v88, v4, v88 op_sel_hi:[0,1]
	v_pk_mul_f16 v87, v4, v87 op_sel_hi:[0,1]
	;; [unrolled: 1-line block ×11, first 2 shown]
	v_mov_b32_e32 v68, v2
.LBB23_27:
	s_or_b64 exec, exec, s[4:5]
	s_and_saveexec_b64 s[4:5], s[14:15]
	s_cbranch_execz .LBB23_29
; %bb.28:
	v_mov_b32_e32 v0, 0xfeffffff
	v_mov_b32_e32 v1, 0
	v_add_u32_e32 v2, 0x2000, v67
	ds_write2_b32 v2, v0, v1 offset1:32
.LBB23_29:
	s_or_b64 exec, exec, s[4:5]
	v_cmp_eq_u32_e32 vcc, 0, v63
	v_lshlrev_b32_e32 v6, 2, v62
	s_waitcnt lgkmcnt(0)
	s_barrier
	s_and_saveexec_b64 s[4:5], vcc
	s_cbranch_execz .LBB23_31
; %bb.30:
	ds_write_b32 v6, v94 offset:8192
.LBB23_31:
	s_or_b64 exec, exec, s[4:5]
	v_mbcnt_hi_u32_b32 v2, -1, v64
	s_waitcnt lgkmcnt(0)
	s_barrier
	ds_read_b32 v0, v67 offset:8192
	v_and_b32_e32 v1, 0x60, v2
	v_add_u32_e32 v7, 32, v1
	v_xor_b32_e32 v1, 16, v2
	v_cmp_lt_i32_e64 s[4:5], v1, v7
	s_nop 1
	v_cndmask_b32_e64 v1, v2, v1, s[4:5]
	v_lshlrev_b32_e32 v3, 2, v1
	s_waitcnt lgkmcnt(0)
	ds_bpermute_b32 v1, v3, v0
	v_max_f32_e32 v0, v0, v0
	s_waitcnt lgkmcnt(0)
	v_max_f32_e32 v1, v1, v1
	v_max_f32_e32 v0, v0, v1
	v_xor_b32_e32 v1, 8, v2
	v_cmp_lt_i32_e64 s[4:5], v1, v7
	s_nop 1
	v_cndmask_b32_e64 v1, v2, v1, s[4:5]
	v_lshlrev_b32_e32 v4, 2, v1
	ds_bpermute_b32 v1, v4, v0
	s_waitcnt lgkmcnt(0)
	v_max_f32_e32 v1, v1, v1
	v_max_f32_e32 v0, v0, v1
	v_xor_b32_e32 v1, 4, v2
	v_cmp_lt_i32_e64 s[4:5], v1, v7
	s_nop 1
	v_cndmask_b32_e64 v1, v2, v1, s[4:5]
	v_lshlrev_b32_e32 v5, 2, v1
	ds_bpermute_b32 v1, v5, v0
	;; [unrolled: 9-line block ×4, first 2 shown]
	s_mov_b32 s4, 0x3fb8aa3b
	s_waitcnt lgkmcnt(0)
	v_max_f32_e32 v7, v7, v7
	v_max_f32_e32 v0, v0, v7
	v_sub_f32_e32 v7, v94, v0
	v_mul_f32_e32 v8, 0x3fb8aa3b, v7
	v_fma_f32 v9, v7, s4, -v8
	v_rndne_f32_e32 v10, v8
	v_fmamk_f32 v9, v7, 0x32a5705f, v9
	v_sub_f32_e32 v8, v8, v10
	v_add_f32_e32 v8, v8, v9
	v_exp_f32_e32 v8, v8
	v_cvt_i32_f32_e32 v9, v10
	s_mov_b32 s4, 0xc2ce8ed0
	v_cmp_ngt_f32_e64 s[4:5], s4, v7
	v_ldexp_f32 v8, v8, v9
	s_nop 0
	v_cndmask_b32_e64 v8, 0, v8, s[4:5]
	s_mov_b32 s4, 0x42b17218
	v_mov_b32_e32 v9, 0x7f800000
	v_cmp_nlt_f32_e64 s[4:5], s4, v7
	s_nop 1
	v_cndmask_b32_e64 v7, v9, v8, s[4:5]
	v_mul_f32_e32 v9, v68, v7
	ds_bpermute_b32 v9, v3, v9
	v_cvt_f16_f32_e32 v8, v7
	s_movk_i32 s4, 0x70
	s_waitcnt lgkmcnt(0)
	v_fmac_f32_e32 v9, v68, v7
	ds_bpermute_b32 v7, v4, v9
	v_pk_mul_f16 v10, v8, v93 op_sel_hi:[0,1]
	v_pk_mul_f16 v11, v8, v92 op_sel_hi:[0,1]
	;; [unrolled: 1-line block ×4, first 2 shown]
	s_waitcnt lgkmcnt(0)
	v_add_f32_e32 v7, v9, v7
	ds_bpermute_b32 v9, v5, v7
	v_pk_mul_f16 v18, v8, v89 op_sel_hi:[0,1]
	v_pk_mul_f16 v19, v8, v88 op_sel_hi:[0,1]
	v_pk_mul_f16 v20, v8, v87 op_sel_hi:[0,1]
	v_pk_mul_f16 v21, v8, v86 op_sel_hi:[0,1]
	s_waitcnt lgkmcnt(0)
	v_add_f32_e32 v7, v7, v9
	ds_bpermute_b32 v9, v1, v7
	v_pk_mul_f16 v22, v8, v85 op_sel_hi:[0,1]
	v_pk_mul_f16 v23, v8, v84 op_sel_hi:[0,1]
	;; [unrolled: 1-line block ×8, first 2 shown]
	v_lshlrev_b32_e32 v8, 6, v63
	v_and_b32_e32 v8, 0x1e00, v8
	v_lshl_add_u32 v8, v62, 11, v8
	s_waitcnt lgkmcnt(0)
	v_add_f32_e32 v7, v7, v9
	v_and_or_b32 v14, v16, s4, v8
	ds_bpermute_b32 v8, v2, v7
	ds_write_b128 v14, v[10:13]
	ds_write_b128 v14, v[18:21] offset:128
	ds_write_b128 v14, v[22:25] offset:256
	;; [unrolled: 1-line block ×3, first 2 shown]
	s_and_saveexec_b64 s[4:5], vcc
	s_cbranch_execz .LBB23_33
; %bb.32:
	s_waitcnt lgkmcnt(4)
	v_add_f32_e32 v7, v7, v8
	ds_write_b32 v6, v7 offset:8320
.LBB23_33:
	s_or_b64 exec, exec, s[4:5]
	s_waitcnt lgkmcnt(0)
	s_barrier
	ds_read_b32 v6, v67 offset:8320
	ds_read_u16 v7, v65
	ds_read_u16 v8, v65 offset:1280
	ds_read_u16 v9, v65 offset:768
	;; [unrolled: 1-line block ×3, first 2 shown]
	s_waitcnt lgkmcnt(4)
	ds_bpermute_b32 v3, v3, v6
	ds_read_u16 v11, v65 offset:512
	ds_read_u16 v12, v65 offset:1024
	;; [unrolled: 1-line block ×3, first 2 shown]
	s_load_dword s6, s[0:1], 0xd4
	s_waitcnt lgkmcnt(0)
	v_cvt_f32_f16_e32 v9, v9
	v_add_f32_e32 v3, v6, v3
	ds_bpermute_b32 v6, v4, v3
	v_cvt_f32_f16_e32 v8, v8
	s_cmp_eq_u32 s6, 1
	s_mul_i32 s4, s33, s34
	v_mov_b32_e32 v4, s28
	s_waitcnt lgkmcnt(0)
	v_add_f32_e32 v3, v3, v6
	ds_bpermute_b32 v5, v5, v3
	ds_read_u16 v6, v65 offset:2048
	ds_read_u16 v14, v65 offset:2560
	;; [unrolled: 1-line block ×4, first 2 shown]
	s_waitcnt lgkmcnt(4)
	v_add_f32_e32 v3, v3, v5
	ds_bpermute_b32 v1, v1, v3
	v_cvt_f32_f16_e32 v5, v7
	v_cvt_f32_f16_e32 v7, v11
	;; [unrolled: 1-line block ×4, first 2 shown]
	s_waitcnt lgkmcnt(0)
	v_add_f32_e32 v1, v3, v1
	ds_bpermute_b32 v2, v2, v1
	v_add_f32_e32 v3, 0, v5
	v_add_f32_e32 v3, v3, v7
	;; [unrolled: 1-line block ×4, first 2 shown]
	s_waitcnt lgkmcnt(0)
	v_add_f32_e32 v1, v1, v2
	ds_read_u16 v2, v65 offset:3072
	ds_read_u16 v7, v65 offset:2816
	;; [unrolled: 1-line block ×4, first 2 shown]
	v_cvt_f32_f16_e32 v5, v6
	v_cvt_f32_f16_e32 v6, v14
	s_waitcnt lgkmcnt(3)
	v_cvt_f32_f16_e32 v2, v2
	v_cvt_f32_f16_e32 v13, v15
	v_add_f32_e32 v3, v3, v5
	v_add_f32_e32 v3, v3, v6
	;; [unrolled: 1-line block ×4, first 2 shown]
	ds_read_u16 v3, v65 offset:4096
	ds_read_u16 v5, v65 offset:4608
	;; [unrolled: 1-line block ×8, first 2 shown]
	s_waitcnt lgkmcnt(7)
	v_cvt_f32_f16_e32 v3, v3
	s_waitcnt lgkmcnt(6)
	v_cvt_f32_f16_e32 v5, v5
	s_waitcnt lgkmcnt(3)
	v_cvt_f32_f16_e32 v14, v14
	v_cvt_f32_f16_e32 v6, v6
	v_add_f32_e32 v2, v2, v3
	v_add_f32_e32 v2, v2, v5
	;; [unrolled: 1-line block ×4, first 2 shown]
	ds_read_u16 v3, v65 offset:6144
	ds_read_u16 v5, v65 offset:6656
	;; [unrolled: 1-line block ×8, first 2 shown]
	s_waitcnt lgkmcnt(7)
	v_cvt_f32_f16_e32 v3, v3
	s_waitcnt lgkmcnt(6)
	v_cvt_f32_f16_e32 v5, v5
	;; [unrolled: 2-line block ×3, first 2 shown]
	v_cvt_f32_f16_e32 v6, v6
	v_add_f32_e32 v2, v2, v3
	v_add_f32_e32 v2, v2, v5
	;; [unrolled: 1-line block ×4, first 2 shown]
	v_div_scale_f32 v3, s[0:1], v1, v1, v2
	v_rcp_f32_e32 v6, v3
	s_cselect_b64 s[0:1], -1, 0
	v_cvt_f32_f16_e32 v7, v7
	s_add_i32 s2, s4, s2
	v_fma_f32 v20, -v3, v6, 1.0
	v_fmac_f32_e32 v6, v20, v6
	v_div_scale_f32 v20, vcc, v2, v1, v2
	v_mul_f32_e32 v24, v20, v6
	v_fma_f32 v25, -v3, v24, v20
	v_fmac_f32_e32 v24, v25, v6
	v_fma_f32 v3, -v3, v24, v20
	v_div_fmas_f32 v3, v3, v6, v24
	v_div_fixup_f32 v3, v3, v1, v2
	v_cndmask_b32_e64 v6, v2, v3, s[0:1]
	v_cvt_f32_f16_e32 v3, v10
	v_cvt_f32_f16_e32 v10, v12
	s_mul_i32 s2, s2, s35
	s_add_i32 s2, s2, s40
	v_add_f32_e32 v3, 0, v3
	v_add_f32_e32 v3, v3, v9
	;; [unrolled: 1-line block ×3, first 2 shown]
	v_cvt_f32_f16_e32 v8, v11
	v_add_f32_e32 v3, v3, v10
	v_cvt_f32_f16_e32 v9, v16
	v_cvt_f32_f16_e32 v10, v14
	v_add_f32_e32 v3, v3, v8
	v_cvt_f32_f16_e32 v8, v19
	v_add_f32_e32 v3, v3, v7
	;; [unrolled: 2-line block ×3, first 2 shown]
	v_add_f32_e32 v3, v3, v8
	v_cvt_f32_f16_e32 v8, v15
	v_cvt_f32_f16_e32 v9, v13
	v_add_f32_e32 v3, v3, v7
	s_waitcnt lgkmcnt(0)
	v_cvt_f32_f16_e32 v7, v23
	v_add_f32_e32 v3, v3, v8
	ds_read_u16 v8, v65 offset:7936
	v_add_f32_e32 v3, v3, v9
	v_add_f32_e32 v3, v3, v7
	v_cvt_f32_f16_e32 v7, v22
	v_cvt_f32_f16_e32 v9, v21
	s_waitcnt lgkmcnt(0)
	v_cvt_f32_f16_e32 v8, v8
	s_mul_i32 s2, s6, s2
	v_add_f32_e32 v3, v3, v7
	v_add_f32_e32 v3, v3, v9
	;; [unrolled: 1-line block ×4, first 2 shown]
	v_div_scale_f32 v8, s[4:5], v1, v1, v7
	v_rcp_f32_e32 v9, v8
	s_add_i32 s2, s2, s3
	v_mov_b32_e32 v5, s29
	v_lshl_or_b32 v2, s2, 8, v17
	v_mov_b32_e32 v3, 0
	v_lshl_add_u64 v[4:5], v[2:3], 2, v[4:5]
	v_fma_f32 v2, -v8, v9, 1.0
	v_fmac_f32_e32 v9, v2, v9
	v_div_scale_f32 v2, vcc, v7, v1, v7
	global_store_dword v[4:5], v6, off
	v_mul_f32_e32 v6, v2, v9
	v_fma_f32 v10, -v8, v6, v2
	v_fmac_f32_e32 v6, v10, v9
	v_fma_f32 v2, -v8, v6, v2
	v_div_fmas_f32 v2, v2, v9, v6
	v_div_fixup_f32 v2, v2, v1, v7
	s_cmp_lg_u32 s6, 1
	v_cndmask_b32_e64 v2, v7, v2, s[0:1]
	s_cselect_b64 s[0:1], -1, 0
	v_cmp_eq_u32_e32 vcc, 0, v17
	s_and_b64 s[0:1], vcc, s[0:1]
	global_store_dword v[4:5], v2, off offset:512
	s_and_saveexec_b64 s[4:5], s[0:1]
	s_cbranch_execz .LBB23_35
; %bb.34:
	s_mov_b32 s3, 0
	s_lshl_b64 s[0:1], s[2:3], 3
	s_add_u32 s0, s30, s0
	s_addc_u32 s1, s31, s1
	global_store_dwordx2 v3, v[0:1], s[0:1]
.LBB23_35:
	s_endpgm
	.section	.rodata,"a",@progbits
	.p2align	6, 0x0
	.amdhsa_kernel _ZL18flash_attn_ext_vecILi256ELi1EL9ggml_type2ELS0_30ELb0EEvPKcS2_S2_S2_S2_PKiPfP15HIP_vector_typeIfLj2EEffffjfiS6_IjLj3EEiiiiiiiiiiiliiliiiiil
		.amdhsa_group_segment_fixed_size 8448
		.amdhsa_private_segment_fixed_size 0
		.amdhsa_kernarg_size 464
		.amdhsa_user_sgpr_count 2
		.amdhsa_user_sgpr_dispatch_ptr 0
		.amdhsa_user_sgpr_queue_ptr 0
		.amdhsa_user_sgpr_kernarg_segment_ptr 1
		.amdhsa_user_sgpr_dispatch_id 0
		.amdhsa_user_sgpr_kernarg_preload_length 0
		.amdhsa_user_sgpr_kernarg_preload_offset 0
		.amdhsa_user_sgpr_private_segment_size 0
		.amdhsa_uses_dynamic_stack 0
		.amdhsa_enable_private_segment 0
		.amdhsa_system_sgpr_workgroup_id_x 1
		.amdhsa_system_sgpr_workgroup_id_y 1
		.amdhsa_system_sgpr_workgroup_id_z 1
		.amdhsa_system_sgpr_workgroup_info 0
		.amdhsa_system_vgpr_workitem_id 1
		.amdhsa_next_free_vgpr 127
		.amdhsa_next_free_sgpr 52
		.amdhsa_accum_offset 128
		.amdhsa_reserve_vcc 1
		.amdhsa_float_round_mode_32 0
		.amdhsa_float_round_mode_16_64 0
		.amdhsa_float_denorm_mode_32 3
		.amdhsa_float_denorm_mode_16_64 3
		.amdhsa_dx10_clamp 1
		.amdhsa_ieee_mode 1
		.amdhsa_fp16_overflow 0
		.amdhsa_tg_split 0
		.amdhsa_exception_fp_ieee_invalid_op 0
		.amdhsa_exception_fp_denorm_src 0
		.amdhsa_exception_fp_ieee_div_zero 0
		.amdhsa_exception_fp_ieee_overflow 0
		.amdhsa_exception_fp_ieee_underflow 0
		.amdhsa_exception_fp_ieee_inexact 0
		.amdhsa_exception_int_div_zero 0
	.end_amdhsa_kernel
	.section	.text._ZL18flash_attn_ext_vecILi256ELi1EL9ggml_type2ELS0_30ELb0EEvPKcS2_S2_S2_S2_PKiPfP15HIP_vector_typeIfLj2EEffffjfiS6_IjLj3EEiiiiiiiiiiiliiliiiiil,"axG",@progbits,_ZL18flash_attn_ext_vecILi256ELi1EL9ggml_type2ELS0_30ELb0EEvPKcS2_S2_S2_S2_PKiPfP15HIP_vector_typeIfLj2EEffffjfiS6_IjLj3EEiiiiiiiiiiiliiliiiiil,comdat
.Lfunc_end23:
	.size	_ZL18flash_attn_ext_vecILi256ELi1EL9ggml_type2ELS0_30ELb0EEvPKcS2_S2_S2_S2_PKiPfP15HIP_vector_typeIfLj2EEffffjfiS6_IjLj3EEiiiiiiiiiiiliiliiiiil, .Lfunc_end23-_ZL18flash_attn_ext_vecILi256ELi1EL9ggml_type2ELS0_30ELb0EEvPKcS2_S2_S2_S2_PKiPfP15HIP_vector_typeIfLj2EEffffjfiS6_IjLj3EEiiiiiiiiiiiliiliiiiil
                                        ; -- End function
	.section	.AMDGPU.csdata,"",@progbits
; Kernel info:
; codeLenInByte = 15940
; NumSgprs: 58
; NumVgprs: 127
; NumAgprs: 0
; TotalNumVgprs: 127
; ScratchSize: 0
; MemoryBound: 0
; FloatMode: 240
; IeeeMode: 1
; LDSByteSize: 8448 bytes/workgroup (compile time only)
; SGPRBlocks: 7
; VGPRBlocks: 15
; NumSGPRsForWavesPerEU: 58
; NumVGPRsForWavesPerEU: 127
; AccumOffset: 128
; Occupancy: 4
; WaveLimiterHint : 1
; COMPUTE_PGM_RSRC2:SCRATCH_EN: 0
; COMPUTE_PGM_RSRC2:USER_SGPR: 2
; COMPUTE_PGM_RSRC2:TRAP_HANDLER: 0
; COMPUTE_PGM_RSRC2:TGID_X_EN: 1
; COMPUTE_PGM_RSRC2:TGID_Y_EN: 1
; COMPUTE_PGM_RSRC2:TGID_Z_EN: 1
; COMPUTE_PGM_RSRC2:TIDIG_COMP_CNT: 1
; COMPUTE_PGM_RSRC3_GFX90A:ACCUM_OFFSET: 31
; COMPUTE_PGM_RSRC3_GFX90A:TG_SPLIT: 0
	.section	.text._ZL33flash_attn_stream_k_fixup_uniformILi256ELi1ELi1EEvPfPK15HIP_vector_typeIfLj2EEiiiiiiS1_IjLj3EES5_S5_,"axG",@progbits,_ZL33flash_attn_stream_k_fixup_uniformILi256ELi1ELi1EEvPfPK15HIP_vector_typeIfLj2EEiiiiiiS1_IjLj3EES5_S5_,comdat
	.globl	_ZL33flash_attn_stream_k_fixup_uniformILi256ELi1ELi1EEvPfPK15HIP_vector_typeIfLj2EEiiiiiiS1_IjLj3EES5_S5_ ; -- Begin function _ZL33flash_attn_stream_k_fixup_uniformILi256ELi1ELi1EEvPfPK15HIP_vector_typeIfLj2EEiiiiiiS1_IjLj3EES5_S5_
	.p2align	8
	.type	_ZL33flash_attn_stream_k_fixup_uniformILi256ELi1ELi1EEvPfPK15HIP_vector_typeIfLj2EEiiiiiiS1_IjLj3EES5_S5_,@function
_ZL33flash_attn_stream_k_fixup_uniformILi256ELi1ELi1EEvPfPK15HIP_vector_typeIfLj2EEiiiiiiS1_IjLj3EES5_S5_: ; @_ZL33flash_attn_stream_k_fixup_uniformILi256ELi1ELi1EEvPfPK15HIP_vector_typeIfLj2EEiiiiiiS1_IjLj3EES5_S5_
; %bb.0:
	s_load_dwordx8 s[8:15], s[0:1], 0x1c
	s_load_dwordx2 s[6:7], s[0:1], 0x10
	s_load_dwordx4 s[16:19], s[0:1], 0x3c
	s_waitcnt lgkmcnt(0)
	s_mul_hi_u32 s5, s11, s2
	s_add_i32 s5, s2, s5
	s_lshr_b32 s5, s5, s12
	s_mul_i32 s11, s5, s13
	s_sub_i32 s12, s2, s11
	s_mul_hi_u32 s11, s12, s14
	s_add_i32 s11, s12, s11
	s_lshr_b32 s11, s11, s15
	s_mul_i32 s13, s11, s16
	s_sub_i32 s12, s12, s13
	;; [unrolled: 5-line block ×3, first 2 shown]
	s_add_i32 s17, s17, s3
	s_cmp_lt_i32 s17, s6
	s_cselect_b64 s[12:13], -1, 0
	s_add_i32 s16, s16, s4
	s_cmp_lt_i32 s16, s9
	s_cselect_b64 s[14:15], -1, 0
	s_and_b64 s[12:13], s[12:13], s[14:15]
	s_andn2_b64 vcc, exec, s[12:13]
	s_cbranch_vccnz .LBB24_6
; %bb.1:
	s_load_dwordx4 s[12:15], s[0:1], 0x0
	s_mul_i32 s5, s5, s6
	s_mul_i32 s11, s11, s9
	s_add_i32 s0, s17, s5
	s_mul_i32 s0, s0, s7
	s_add_i32 s1, s16, s11
	s_add_i32 s1, s1, s0
	v_lshl_or_b32 v4, s1, 8, v0
	s_waitcnt lgkmcnt(0)
	v_mov_b32_e32 v2, s12
	v_mov_b32_e32 v3, s13
	v_ashrrev_i32_e32 v5, 31, v4
	v_lshl_add_u64 v[2:3], v[4:5], 2, v[2:3]
	global_load_dword v7, v[2:3], off
	s_add_i32 s6, s3, s4
	s_mul_i32 s4, s2, s10
	s_add_i32 s5, s4, s10
	s_add_i32 s7, s6, s5
	s_add_i32 s0, s7, -1
	s_ashr_i32 s1, s0, 31
	s_lshl_b64 s[0:1], s[0:1], 3
	s_add_u32 s0, s14, s0
	s_addc_u32 s1, s15, s1
	s_load_dword s9, s[0:1], 0x4
	s_add_i32 s2, s5, -2
	s_cmp_lt_i32 s2, s4
	s_cbranch_scc1 .LBB24_4
; %bb.2:
	s_load_dword s0, s[0:1], 0x0
	s_lshl_b32 s2, s8, 2
	s_ashr_i32 s3, s2, 31
	s_lshl_b64 s[2:3], s[2:3], 2
	s_add_u32 s2, s14, s2
	v_lshl_or_b32 v0, s7, 8, v0
	s_addc_u32 s3, s15, s3
	s_add_i32 s5, s5, -1
	s_add_i32 s6, s6, s8
	v_add_u32_e32 v0, 0xfffffe00, v0
	s_waitcnt lgkmcnt(0)
	v_mov_b32_e32 v6, s9
	v_mov_b32_e32 v5, s0
	s_mov_b32 s7, 0x3fb8aa3b
	s_mov_b32 s8, 0xc2ce8ed0
	s_mov_b32 s9, 0x42b17218
	v_mov_b32_e32 v4, 0x7f800000
	s_mov_b32 s10, 0xc1a00000
.LBB24_3:                               ; =>This Inner Loop Header: Depth=1
	v_ashrrev_i32_e32 v1, 31, v0
	v_lshl_add_u64 v[8:9], v[0:1], 2, s[2:3]
	global_load_dword v1, v[8:9], off
	s_add_i32 s5, s5, -1
	s_add_i32 s0, s5, s6
	s_ashr_i32 s1, s0, 31
	s_lshl_b64 s[0:1], s[0:1], 3
	s_add_u32 s0, s14, s0
	s_addc_u32 s1, s15, s1
	s_load_dwordx2 s[12:13], s[0:1], 0x0
	s_waitcnt vmcnt(1)
	v_mov_b32_e32 v8, v7
	v_max_f32_e32 v7, v5, v5
	v_mov_b32_e32 v9, v6
	v_add_u32_e32 v0, 0xffffff00, v0
	s_waitcnt lgkmcnt(0)
	v_max_f32_e64 v6, s12, s12
	v_max_f32_e32 v6, v7, v6
	v_sub_f32_e32 v10, s12, v6
	v_sub_f32_e32 v7, v5, v6
	v_mul_f32_e32 v11, 0x3fb8aa3b, v10
	v_mov_b32_e32 v5, v6
	v_mul_f32_e32 v6, 0x3fb8aa3b, v7
	v_fma_f32 v14, v10, s7, -v11
	v_rndne_f32_e32 v15, v11
	v_fma_f32 v12, v7, s7, -v6
	v_rndne_f32_e32 v13, v6
	v_fmac_f32_e32 v14, 0x32a5705f, v10
	v_sub_f32_e32 v11, v11, v15
	v_fmac_f32_e32 v12, 0x32a5705f, v7
	v_sub_f32_e32 v6, v6, v13
	v_add_f32_e32 v11, v11, v14
	v_cvt_i32_f32_e32 v15, v15
	v_add_f32_e32 v6, v6, v12
	v_exp_f32_e32 v11, v11
	v_cvt_i32_f32_e32 v13, v13
	v_exp_f32_e32 v6, v6
	v_cmp_ngt_f32_e32 vcc, s8, v10
	v_ldexp_f32 v11, v11, v15
	v_cmp_ngt_f32_e64 s[0:1], s8, v7
	v_ldexp_f32 v6, v6, v13
	v_cndmask_b32_e32 v11, 0, v11, vcc
	v_cmp_nlt_f32_e32 vcc, s9, v10
	v_cndmask_b32_e64 v6, 0, v6, s[0:1]
	v_cmp_nlt_f32_e64 s[0:1], s9, v7
	v_cndmask_b32_e32 v11, v4, v11, vcc
	v_cmp_le_f32_e32 vcc, s10, v10
	v_cndmask_b32_e64 v6, v4, v6, s[0:1]
	v_cmp_le_f32_e64 s[0:1], s10, v7
	v_cndmask_b32_e32 v7, 0, v11, vcc
	s_cmp_le_i32 s5, s4
	v_cndmask_b32_e64 v10, 0, v6, s[0:1]
	v_mul_f32_e32 v6, s13, v7
	v_fmac_f32_e32 v6, v9, v10
	s_waitcnt vmcnt(0)
	v_mul_f32_e32 v7, v1, v7
	v_fmac_f32_e32 v7, v8, v10
	s_cbranch_scc0 .LBB24_3
	s_branch .LBB24_5
.LBB24_4:
	s_waitcnt lgkmcnt(0)
	v_mov_b32_e32 v6, s9
.LBB24_5:
	s_waitcnt vmcnt(0)
	v_div_scale_f32 v0, s[0:1], v6, v6, v7
	v_rcp_f32_e32 v1, v0
	v_div_scale_f32 v4, vcc, v7, v6, v7
	v_fma_f32 v5, -v0, v1, 1.0
	v_fmac_f32_e32 v1, v5, v1
	v_mul_f32_e32 v5, v4, v1
	v_fma_f32 v8, -v0, v5, v4
	v_fmac_f32_e32 v5, v8, v1
	v_fma_f32 v0, -v0, v5, v4
	v_div_fmas_f32 v0, v0, v1, v5
	v_div_fixup_f32 v0, v0, v6, v7
	global_store_dword v[2:3], v0, off
.LBB24_6:
	s_endpgm
	.section	.rodata,"a",@progbits
	.p2align	6, 0x0
	.amdhsa_kernel _ZL33flash_attn_stream_k_fixup_uniformILi256ELi1ELi1EEvPfPK15HIP_vector_typeIfLj2EEiiiiiiS1_IjLj3EES5_S5_
		.amdhsa_group_segment_fixed_size 0
		.amdhsa_private_segment_fixed_size 0
		.amdhsa_kernarg_size 76
		.amdhsa_user_sgpr_count 2
		.amdhsa_user_sgpr_dispatch_ptr 0
		.amdhsa_user_sgpr_queue_ptr 0
		.amdhsa_user_sgpr_kernarg_segment_ptr 1
		.amdhsa_user_sgpr_dispatch_id 0
		.amdhsa_user_sgpr_kernarg_preload_length 0
		.amdhsa_user_sgpr_kernarg_preload_offset 0
		.amdhsa_user_sgpr_private_segment_size 0
		.amdhsa_uses_dynamic_stack 0
		.amdhsa_enable_private_segment 0
		.amdhsa_system_sgpr_workgroup_id_x 1
		.amdhsa_system_sgpr_workgroup_id_y 1
		.amdhsa_system_sgpr_workgroup_id_z 1
		.amdhsa_system_sgpr_workgroup_info 0
		.amdhsa_system_vgpr_workitem_id 0
		.amdhsa_next_free_vgpr 16
		.amdhsa_next_free_sgpr 20
		.amdhsa_accum_offset 16
		.amdhsa_reserve_vcc 1
		.amdhsa_float_round_mode_32 0
		.amdhsa_float_round_mode_16_64 0
		.amdhsa_float_denorm_mode_32 3
		.amdhsa_float_denorm_mode_16_64 3
		.amdhsa_dx10_clamp 1
		.amdhsa_ieee_mode 1
		.amdhsa_fp16_overflow 0
		.amdhsa_tg_split 0
		.amdhsa_exception_fp_ieee_invalid_op 0
		.amdhsa_exception_fp_denorm_src 0
		.amdhsa_exception_fp_ieee_div_zero 0
		.amdhsa_exception_fp_ieee_overflow 0
		.amdhsa_exception_fp_ieee_underflow 0
		.amdhsa_exception_fp_ieee_inexact 0
		.amdhsa_exception_int_div_zero 0
	.end_amdhsa_kernel
	.section	.text._ZL33flash_attn_stream_k_fixup_uniformILi256ELi1ELi1EEvPfPK15HIP_vector_typeIfLj2EEiiiiiiS1_IjLj3EES5_S5_,"axG",@progbits,_ZL33flash_attn_stream_k_fixup_uniformILi256ELi1ELi1EEvPfPK15HIP_vector_typeIfLj2EEiiiiiiS1_IjLj3EES5_S5_,comdat
.Lfunc_end24:
	.size	_ZL33flash_attn_stream_k_fixup_uniformILi256ELi1ELi1EEvPfPK15HIP_vector_typeIfLj2EEiiiiiiS1_IjLj3EES5_S5_, .Lfunc_end24-_ZL33flash_attn_stream_k_fixup_uniformILi256ELi1ELi1EEvPfPK15HIP_vector_typeIfLj2EEiiiiiiS1_IjLj3EES5_S5_
                                        ; -- End function
	.section	.AMDGPU.csdata,"",@progbits
; Kernel info:
; codeLenInByte = 764
; NumSgprs: 26
; NumVgprs: 16
; NumAgprs: 0
; TotalNumVgprs: 16
; ScratchSize: 0
; MemoryBound: 0
; FloatMode: 240
; IeeeMode: 1
; LDSByteSize: 0 bytes/workgroup (compile time only)
; SGPRBlocks: 3
; VGPRBlocks: 1
; NumSGPRsForWavesPerEU: 26
; NumVGPRsForWavesPerEU: 16
; AccumOffset: 16
; Occupancy: 8
; WaveLimiterHint : 0
; COMPUTE_PGM_RSRC2:SCRATCH_EN: 0
; COMPUTE_PGM_RSRC2:USER_SGPR: 2
; COMPUTE_PGM_RSRC2:TRAP_HANDLER: 0
; COMPUTE_PGM_RSRC2:TGID_X_EN: 1
; COMPUTE_PGM_RSRC2:TGID_Y_EN: 1
; COMPUTE_PGM_RSRC2:TGID_Z_EN: 1
; COMPUTE_PGM_RSRC2:TIDIG_COMP_CNT: 0
; COMPUTE_PGM_RSRC3_GFX90A:ACCUM_OFFSET: 3
; COMPUTE_PGM_RSRC3_GFX90A:TG_SPLIT: 0
	.section	.text._ZL33flash_attn_stream_k_fixup_generalILi256ELi1ELi1EEvPfPK15HIP_vector_typeIfLj2EEiiiiS1_IjLj3EES5_S5_S5_,"axG",@progbits,_ZL33flash_attn_stream_k_fixup_generalILi256ELi1ELi1EEvPfPK15HIP_vector_typeIfLj2EEiiiiS1_IjLj3EES5_S5_S5_,comdat
	.globl	_ZL33flash_attn_stream_k_fixup_generalILi256ELi1ELi1EEvPfPK15HIP_vector_typeIfLj2EEiiiiS1_IjLj3EES5_S5_S5_ ; -- Begin function _ZL33flash_attn_stream_k_fixup_generalILi256ELi1ELi1EEvPfPK15HIP_vector_typeIfLj2EEiiiiS1_IjLj3EES5_S5_S5_
	.p2align	8
	.type	_ZL33flash_attn_stream_k_fixup_generalILi256ELi1ELi1EEvPfPK15HIP_vector_typeIfLj2EEiiiiS1_IjLj3EES5_S5_S5_,@function
_ZL33flash_attn_stream_k_fixup_generalILi256ELi1ELi1EEvPfPK15HIP_vector_typeIfLj2EEiiiiS1_IjLj3EES5_S5_S5_: ; @_ZL33flash_attn_stream_k_fixup_generalILi256ELi1ELi1EEvPfPK15HIP_vector_typeIfLj2EEiiiiS1_IjLj3EES5_S5_S5_
; %bb.0:
	s_load_dwordx4 s[12:15], s[0:1], 0x10
	s_load_dword s22, s[0:1], 0x50
	s_mov_b32 s8, 0
	s_waitcnt lgkmcnt(0)
	s_mul_hi_i32 s9, s15, s2
	s_cmp_lg_u64 s[8:9], 0
	s_mul_i32 s5, s15, s2
	s_cbranch_scc0 .LBB25_21
; %bb.1:
	v_cvt_f32_u32_e32 v1, s22
	v_cvt_f32_ubyte0_e32 v2, 0
	s_sub_u32 s8, 0, s22
	s_subb_u32 s10, 0, 0
	v_fmamk_f32 v1, v2, 0x4f800000, v1
	v_rcp_f32_e32 v1, v1
	s_nop 0
	v_mul_f32_e32 v1, 0x5f7ffffc, v1
	v_mul_f32_e32 v2, 0x2f800000, v1
	v_trunc_f32_e32 v2, v2
	v_fmamk_f32 v1, v2, 0xcf800000, v1
	v_cvt_u32_f32_e32 v2, v2
	v_cvt_u32_f32_e32 v1, v1
	v_readfirstlane_b32 s11, v2
	v_readfirstlane_b32 s16, v1
	s_mul_i32 s17, s8, s11
	s_mul_hi_u32 s19, s8, s16
	s_mul_i32 s18, s10, s16
	s_add_i32 s17, s19, s17
	s_add_i32 s17, s17, s18
	s_mul_i32 s20, s8, s16
	s_mul_hi_u32 s18, s16, s17
	s_mul_i32 s19, s16, s17
	s_mul_hi_u32 s16, s16, s20
	s_add_u32 s16, s16, s19
	s_addc_u32 s18, 0, s18
	s_mul_hi_u32 s21, s11, s20
	s_mul_i32 s20, s11, s20
	s_add_u32 s16, s16, s20
	s_mul_hi_u32 s19, s11, s17
	s_addc_u32 s16, s18, s21
	s_addc_u32 s18, s19, 0
	s_mul_i32 s17, s11, s17
	s_add_u32 s16, s16, s17
	s_addc_u32 s17, 0, s18
	v_add_co_u32_e32 v1, vcc, s16, v1
	s_cmp_lg_u64 vcc, 0
	s_addc_u32 s11, s11, s17
	v_readfirstlane_b32 s17, v1
	s_mul_i32 s16, s8, s11
	s_mul_hi_u32 s18, s8, s17
	s_add_i32 s16, s18, s16
	s_mul_i32 s10, s10, s17
	s_add_i32 s16, s16, s10
	s_mul_i32 s8, s8, s17
	s_mul_hi_u32 s18, s11, s8
	s_mul_i32 s19, s11, s8
	s_mul_i32 s21, s17, s16
	s_mul_hi_u32 s8, s17, s8
	s_mul_hi_u32 s20, s17, s16
	s_add_u32 s8, s8, s21
	s_addc_u32 s17, 0, s20
	s_add_u32 s8, s8, s19
	s_mul_hi_u32 s10, s11, s16
	s_addc_u32 s8, s17, s18
	s_addc_u32 s10, s10, 0
	s_mul_i32 s16, s11, s16
	s_add_u32 s8, s8, s16
	s_addc_u32 s10, 0, s10
	v_add_co_u32_e32 v1, vcc, s8, v1
	s_cmp_lg_u64 vcc, 0
	s_addc_u32 s16, s11, s10
	s_ashr_i32 s10, s9, 31
	s_add_u32 s8, s5, s10
	s_mov_b32 s11, s10
	s_addc_u32 s9, s9, s10
	s_xor_b64 s[8:9], s[8:9], s[10:11]
	v_readfirstlane_b32 s19, v1
	s_mul_i32 s18, s8, s16
	s_mul_hi_u32 s20, s8, s19
	s_mul_hi_u32 s17, s8, s16
	s_add_u32 s18, s20, s18
	s_addc_u32 s17, 0, s17
	s_mul_hi_u32 s21, s9, s19
	s_mul_i32 s19, s9, s19
	s_add_u32 s18, s18, s19
	s_mul_hi_u32 s20, s9, s16
	s_addc_u32 s17, s17, s21
	s_addc_u32 s18, s20, 0
	s_mul_i32 s16, s9, s16
	s_add_u32 s16, s17, s16
	s_addc_u32 s17, 0, s18
	s_add_u32 s18, s16, 1
	s_addc_u32 s19, s17, 0
	s_add_u32 s20, s16, 2
	s_mul_i32 s23, s22, s17
	s_mul_hi_u32 s24, s22, s16
	s_addc_u32 s21, s17, 0
	s_add_i32 s24, s24, s23
	s_mul_i32 s23, s22, s16
	v_mov_b32_e32 v1, s23
	v_sub_co_u32_e32 v1, vcc, s8, v1
	s_cmp_lg_u64 vcc, 0
	s_subb_u32 s8, s9, s24
	v_subrev_co_u32_e32 v2, vcc, s22, v1
	s_cmp_lg_u64 vcc, 0
	s_subb_u32 s9, s8, 0
	v_readfirstlane_b32 s23, v2
	s_cmp_ge_u32 s23, s22
	s_cselect_b32 s23, -1, 0
	s_cmp_eq_u32 s9, 0
	s_cselect_b32 s9, s23, -1
	s_cmp_lg_u32 s9, 0
	s_cselect_b32 s9, s21, s19
	v_readfirstlane_b32 s19, v1
	s_cselect_b32 s18, s20, s18
	s_cmp_ge_u32 s19, s22
	s_cselect_b32 s19, -1, 0
	s_cmp_eq_u32 s8, 0
	s_cselect_b32 s8, s19, -1
	s_cmp_lg_u32 s8, 0
	s_cselect_b32 s9, s9, s17
	s_cselect_b32 s8, s18, s16
	s_xor_b64 s[8:9], s[8:9], s[10:11]
	s_sub_u32 s20, s8, s10
	s_load_dwordx4 s[16:19], s[0:1], 0x44
	s_cbranch_execnz .LBB25_3
.LBB25_2:
	v_cvt_f32_u32_e32 v1, s22
	s_sub_i32 s6, 0, s22
	v_rcp_iflag_f32_e32 v1, v1
	s_nop 0
	v_mul_f32_e32 v1, 0x4f7ffffe, v1
	v_cvt_u32_f32_e32 v1, v1
	s_nop 0
	v_readfirstlane_b32 s7, v1
	s_mul_i32 s6, s6, s7
	s_mul_hi_u32 s6, s7, s6
	s_add_i32 s7, s7, s6
	s_mul_hi_u32 s6, s5, s7
	s_mul_i32 s8, s6, s22
	s_sub_i32 s5, s5, s8
	s_add_i32 s7, s6, 1
	s_sub_i32 s8, s5, s22
	s_cmp_ge_u32 s5, s22
	s_cselect_b32 s6, s7, s6
	s_cselect_b32 s5, s8, s5
	s_add_i32 s7, s6, 1
	s_cmp_ge_u32 s5, s22
	s_cselect_b32 s20, s7, s6
.LBB25_3:
	s_add_i32 s5, s2, 1
	s_mul_hi_i32 s9, s15, s5
	s_mov_b32 s8, 0
	s_cmp_lg_u64 s[8:9], 0
	s_mul_i32 s5, s15, s5
	s_cbranch_scc0 .LBB25_22
; %bb.4:
	v_cvt_f32_u32_e32 v1, s22
	v_cvt_f32_ubyte0_e32 v2, 0
	s_sub_u32 s8, 0, s22
	s_subb_u32 s10, 0, 0
	v_fmamk_f32 v1, v2, 0x4f800000, v1
	v_rcp_f32_e32 v1, v1
	s_nop 0
	v_mul_f32_e32 v1, 0x5f7ffffc, v1
	v_mul_f32_e32 v2, 0x2f800000, v1
	v_trunc_f32_e32 v2, v2
	v_fmamk_f32 v1, v2, 0xcf800000, v1
	v_cvt_u32_f32_e32 v2, v2
	v_cvt_u32_f32_e32 v1, v1
	v_readfirstlane_b32 s11, v2
	s_waitcnt lgkmcnt(0)
	v_readfirstlane_b32 s19, v1
	s_mul_i32 s21, s8, s11
	s_mul_hi_u32 s24, s8, s19
	s_mul_i32 s23, s10, s19
	s_add_i32 s21, s24, s21
	s_add_i32 s21, s21, s23
	s_mul_i32 s25, s8, s19
	s_mul_hi_u32 s23, s19, s21
	s_mul_i32 s24, s19, s21
	s_mul_hi_u32 s19, s19, s25
	s_add_u32 s19, s19, s24
	s_addc_u32 s23, 0, s23
	s_mul_hi_u32 s26, s11, s25
	s_mul_i32 s25, s11, s25
	s_add_u32 s19, s19, s25
	s_mul_hi_u32 s24, s11, s21
	s_addc_u32 s19, s23, s26
	s_addc_u32 s23, s24, 0
	s_mul_i32 s21, s11, s21
	s_add_u32 s19, s19, s21
	s_addc_u32 s21, 0, s23
	v_add_co_u32_e32 v1, vcc, s19, v1
	s_cmp_lg_u64 vcc, 0
	s_addc_u32 s11, s11, s21
	v_readfirstlane_b32 s21, v1
	s_mul_i32 s19, s8, s11
	s_mul_hi_u32 s23, s8, s21
	s_add_i32 s19, s23, s19
	s_mul_i32 s10, s10, s21
	s_add_i32 s19, s19, s10
	s_mul_i32 s8, s8, s21
	s_mul_hi_u32 s23, s11, s8
	s_mul_i32 s24, s11, s8
	s_mul_i32 s26, s21, s19
	s_mul_hi_u32 s8, s21, s8
	s_mul_hi_u32 s25, s21, s19
	s_add_u32 s8, s8, s26
	s_addc_u32 s21, 0, s25
	s_add_u32 s8, s8, s24
	s_mul_hi_u32 s10, s11, s19
	s_addc_u32 s8, s21, s23
	s_addc_u32 s10, s10, 0
	s_mul_i32 s19, s11, s19
	s_add_u32 s8, s8, s19
	s_addc_u32 s10, 0, s10
	v_add_co_u32_e32 v1, vcc, s8, v1
	s_cmp_lg_u64 vcc, 0
	s_addc_u32 s19, s11, s10
	s_ashr_i32 s10, s9, 31
	s_add_u32 s8, s5, s10
	s_mov_b32 s11, s10
	s_addc_u32 s9, s9, s10
	s_xor_b64 s[8:9], s[8:9], s[10:11]
	v_readfirstlane_b32 s23, v1
	s_mul_i32 s21, s8, s19
	s_mul_hi_u32 s24, s8, s23
	s_mul_hi_u32 s11, s8, s19
	s_add_u32 s21, s24, s21
	s_addc_u32 s11, 0, s11
	s_mul_hi_u32 s25, s9, s23
	s_mul_i32 s23, s9, s23
	s_add_u32 s21, s21, s23
	s_mul_hi_u32 s24, s9, s19
	s_addc_u32 s11, s11, s25
	s_addc_u32 s21, s24, 0
	s_mul_i32 s19, s9, s19
	s_add_u32 s11, s11, s19
	s_addc_u32 s19, 0, s21
	s_mul_i32 s19, s22, s19
	s_mul_hi_u32 s24, s22, s11
	s_add_i32 s24, s24, s19
	s_mul_i32 s19, s22, s11
	v_mov_b32_e32 v1, s19
	s_add_u32 s21, s11, 1
	s_add_u32 s23, s11, 2
	v_sub_co_u32_e32 v1, vcc, s8, v1
	s_cmp_lg_u64 vcc, 0
	s_subb_u32 s8, s9, s24
	v_subrev_co_u32_e32 v2, vcc, s22, v1
	s_cmp_lg_u64 vcc, 0
	s_subb_u32 s9, s8, 0
	v_cmp_le_u32_e32 vcc, s22, v2
	s_cmp_eq_u32 s9, 0
	v_mov_b32_e32 v3, s21
	v_cndmask_b32_e64 v2, 0, -1, vcc
	s_cselect_b64 vcc, -1, 0
	v_cndmask_b32_e32 v2, -1, v2, vcc
	v_mov_b32_e32 v4, s23
	v_cmp_ne_u32_e32 vcc, 0, v2
	s_cmp_eq_u32 s8, 0
	s_nop 0
	v_cndmask_b32_e32 v2, v3, v4, vcc
	v_cmp_le_u32_e32 vcc, s22, v1
	v_mov_b32_e32 v3, s11
	s_nop 0
	v_cndmask_b32_e64 v1, 0, -1, vcc
	s_cselect_b64 vcc, -1, 0
	v_cndmask_b32_e32 v1, -1, v1, vcc
	v_cmp_ne_u32_e32 vcc, 0, v1
	s_nop 1
	v_cndmask_b32_e32 v1, v3, v2, vcc
	v_xor_b32_e32 v1, s10, v1
	v_subrev_co_u32_e32 v2, vcc, s10, v1
	s_cbranch_execnz .LBB25_6
.LBB25_5:
	v_cvt_f32_u32_e32 v1, s22
	s_sub_i32 s6, 0, s22
	s_mov_b32 s7, 0
	v_rcp_iflag_f32_e32 v1, v1
	s_nop 0
	v_mul_f32_e32 v1, 0x4f7ffffe, v1
	v_cvt_u32_f32_e32 v1, v1
	s_nop 0
	v_readfirstlane_b32 s8, v1
	s_mul_i32 s6, s6, s8
	s_mul_hi_u32 s6, s8, s6
	s_add_i32 s8, s8, s6
	s_mul_hi_u32 s6, s5, s8
	s_mul_i32 s9, s6, s22
	s_sub_i32 s5, s5, s9
	s_add_i32 s8, s6, 1
	s_sub_i32 s9, s5, s22
	s_cmp_ge_u32 s5, s22
	s_cselect_b32 s6, s8, s6
	s_cselect_b32 s5, s9, s5
	s_add_i32 s8, s6, 1
	s_cmp_ge_u32 s5, s22
	s_cselect_b32 s6, s8, s6
	v_mov_b64_e32 v[2:3], s[6:7]
.LBB25_6:
	s_waitcnt lgkmcnt(0)
	s_mul_hi_u32 s5, s20, s16
	s_add_i32 s5, s5, s20
	v_mul_hi_u32 v1, v2, s16
	s_lshr_b32 s19, s5, s17
	v_add_u32_e32 v1, v1, v2
	s_mul_i32 s5, s19, s18
	v_lshrrev_b32_e32 v1, s17, v1
	s_cmp_eq_u32 s5, s20
	v_cmp_eq_u32_e64 s[6:7], s19, v1
	v_mul_lo_u32 v1, v1, s18
	v_cmp_eq_u32_e32 vcc, s20, v2
	s_cselect_b64 s[10:11], -1, 0
	v_cmp_ne_u32_e64 s[8:9], v1, v2
	s_and_b64 s[6:7], s[6:7], s[8:9]
	s_or_b64 s[8:9], vcc, s[10:11]
	s_or_b64 s[6:7], s[8:9], s[6:7]
	s_and_b64 vcc, exec, s[6:7]
	s_cbranch_vccnz .LBB25_24
; %bb.7:
	s_load_dwordx8 s[24:31], s[0:1], 0x20
	s_load_dword s5, s[0:1], 0x40
	s_waitcnt lgkmcnt(0)
	s_mul_hi_u32 s6, s20, s24
	s_add_i32 s6, s6, s20
	s_lshr_b32 s7, s6, s25
	s_mul_i32 s6, s7, s26
	s_sub_i32 s6, s20, s6
	s_mul_hi_u32 s8, s6, s27
	s_add_i32 s8, s6, s8
	s_lshr_b32 s23, s8, s28
	s_mul_i32 s8, s23, s29
	s_sub_i32 s6, s6, s8
	;; [unrolled: 5-line block ×3, first 2 shown]
	s_mul_hi_u32 s6, s5, s16
	s_add_i32 s5, s5, s6
	s_lshr_b32 s24, s5, s17
	s_add_i32 s24, s24, s3
	s_cmp_lt_i32 s24, s12
	s_cselect_b64 s[8:9], -1, 0
	s_add_i32 s25, s25, s4
	s_cmp_lt_i32 s25, s14
	s_cselect_b64 s[10:11], -1, 0
	s_and_b64 s[8:9], s[8:9], s[10:11]
	s_andn2_b64 vcc, exec, s[8:9]
	s_mov_b32 s6, 0
	s_cbranch_vccnz .LBB25_24
; %bb.8:
	s_load_dwordx4 s[8:11], s[0:1], 0x0
	s_lshl_b32 s0, s22, 2
	s_mov_b32 s1, s6
	s_add_i32 s21, s3, s4
	s_lshl_b64 s[0:1], s[0:1], 2
	s_waitcnt lgkmcnt(0)
	s_add_u32 s4, s10, s0
	s_mul_i32 s7, s7, s12
	s_addc_u32 s5, s11, s1
	s_mul_i32 s23, s23, s14
	s_add_i32 s0, s24, s7
	s_mul_i32 s0, s0, s13
	s_add_i32 s1, s25, s23
	s_add_i32 s1, s1, s0
	v_lshl_or_b32 v4, s1, 8, v0
	v_mov_b32_e32 v2, s8
	v_mov_b32_e32 v3, s9
	v_ashrrev_i32_e32 v5, 31, v4
	v_lshl_add_u64 v[2:3], v[4:5], 2, v[2:3]
	global_load_dword v1, v[2:3], off
	v_cvt_f32_u32_e32 v4, s22
	v_cvt_f32_ubyte0_e32 v5, 0
	s_add_i32 s0, s21, s2
	s_ashr_i32 s1, s0, 31
	v_fmac_f32_e32 v4, 0x4f800000, v5
	v_rcp_f32_e32 v4, v4
	v_cvt_f32_u32_e32 v5, s22
	s_lshl_b64 s[0:1], s[0:1], 3
	s_add_u32 s0, s10, s0
	v_mul_f32_e32 v4, 0x5f7ffffc, v4
	v_rcp_iflag_f32_e32 v5, v5
	v_mul_f32_e32 v9, 0x2f800000, v4
	s_addc_u32 s1, s11, s1
	v_trunc_f32_e32 v10, v9
	s_load_dwordx2 s[0:1], s[0:1], 0x0
	v_fmac_f32_e32 v4, 0xcf800000, v10
	v_cvt_u32_f32_e32 v9, v4
	v_mul_f32_e32 v4, 0x4f7ffffe, v5
	v_cvt_u32_f32_e32 v10, v10
	v_cvt_u32_f32_e32 v11, v4
	s_add_i32 s12, s2, -1
	s_waitcnt lgkmcnt(0)
	v_mov_b32_e32 v6, s1
	v_mov_b32_e32 v7, s0
	;; [unrolled: 1-line block ×3, first 2 shown]
	s_mov_b32 s8, 0x3fb8aa3b
	s_mov_b32 s9, 0xc2ce8ed0
	;; [unrolled: 1-line block ×4, first 2 shown]
	v_mov_b32_e32 v12, 0x7f800000
	s_mul_hi_i32 s7, s12, s15
	s_cmp_lg_u64 s[6:7], 0
	s_mul_i32 s2, s12, s15
	s_cbranch_scc0 .LBB25_15
.LBB25_9:
	s_sub_u32 s0, 0, s22
	v_readfirstlane_b32 s3, v9
	v_readfirstlane_b32 s24, v10
	s_subb_u32 s1, 0, 0
	s_mul_hi_u32 s23, s0, s3
	s_mul_i32 s25, s0, s24
	s_mul_i32 s20, s1, s3
	s_add_i32 s23, s23, s25
	s_add_i32 s23, s23, s20
	s_mul_i32 s26, s0, s3
	s_mul_hi_u32 s20, s3, s23
	s_mul_i32 s25, s3, s23
	s_mul_hi_u32 s3, s3, s26
	s_add_u32 s3, s3, s25
	s_addc_u32 s20, 0, s20
	s_mul_hi_u32 s27, s24, s26
	s_mul_i32 s26, s24, s26
	s_add_u32 s3, s3, s26
	s_mul_hi_u32 s25, s24, s23
	s_addc_u32 s3, s20, s27
	s_addc_u32 s20, s25, 0
	s_mul_i32 s23, s24, s23
	s_add_u32 s3, s3, s23
	s_addc_u32 s20, 0, s20
	v_add_co_u32_e32 v4, vcc, s3, v9
	s_cmp_lg_u64 vcc, 0
	s_addc_u32 s3, s24, s20
	v_readfirstlane_b32 s23, v4
	s_mul_i32 s20, s0, s3
	s_mul_hi_u32 s24, s0, s23
	s_add_i32 s20, s24, s20
	s_mul_i32 s1, s1, s23
	s_add_i32 s20, s20, s1
	s_mul_i32 s0, s0, s23
	s_mul_hi_u32 s24, s3, s0
	s_mul_i32 s25, s3, s0
	s_mul_i32 s27, s23, s20
	s_mul_hi_u32 s0, s23, s0
	s_mul_hi_u32 s26, s23, s20
	s_add_u32 s0, s0, s27
	s_addc_u32 s23, 0, s26
	s_add_u32 s0, s0, s25
	s_mul_hi_u32 s1, s3, s20
	s_addc_u32 s0, s23, s24
	s_addc_u32 s1, s1, 0
	s_mul_i32 s20, s3, s20
	s_add_u32 s0, s0, s20
	s_addc_u32 s1, 0, s1
	v_add_co_u32_e32 v4, vcc, s0, v4
	s_cmp_lg_u64 vcc, 0
	s_addc_u32 s3, s3, s1
	s_ashr_i32 s0, s7, 31
	s_add_u32 s24, s2, s0
	s_mov_b32 s1, s0
	s_addc_u32 s25, s7, s0
	s_xor_b64 s[24:25], s[24:25], s[0:1]
	v_readfirstlane_b32 s20, v4
	s_mul_i32 s7, s24, s3
	s_mul_hi_u32 s23, s24, s20
	s_mul_hi_u32 s1, s24, s3
	s_add_u32 s7, s23, s7
	s_addc_u32 s1, 0, s1
	s_mul_hi_u32 s26, s25, s20
	s_mul_i32 s20, s25, s20
	s_add_u32 s7, s7, s20
	s_mul_hi_u32 s23, s25, s3
	s_addc_u32 s1, s1, s26
	s_addc_u32 s7, s23, 0
	s_mul_i32 s3, s25, s3
	s_add_u32 s1, s1, s3
	s_addc_u32 s3, 0, s7
	s_mul_i32 s3, s22, s3
	s_mul_hi_u32 s23, s22, s1
	s_add_i32 s23, s23, s3
	s_mul_i32 s3, s22, s1
	v_mov_b32_e32 v4, s3
	s_add_u32 s7, s1, 1
	s_add_u32 s20, s1, 2
	v_sub_co_u32_e32 v4, vcc, s24, v4
	s_cmp_lg_u64 vcc, 0
	s_subb_u32 s3, s25, s23
	v_subrev_co_u32_e32 v5, vcc, s22, v4
	s_cmp_lg_u64 vcc, 0
	s_subb_u32 s23, s3, 0
	v_cmp_le_u32_e32 vcc, s22, v5
	s_cmp_eq_u32 s23, 0
	v_mov_b32_e32 v13, s7
	v_cndmask_b32_e64 v5, 0, -1, vcc
	s_cselect_b64 vcc, -1, 0
	v_cndmask_b32_e32 v5, -1, v5, vcc
	v_mov_b32_e32 v14, s20
	v_cmp_ne_u32_e32 vcc, 0, v5
	s_cmp_eq_u32 s3, 0
	s_nop 0
	v_cndmask_b32_e32 v5, v13, v14, vcc
	v_cmp_le_u32_e32 vcc, s22, v4
	v_mov_b32_e32 v13, s1
	s_nop 0
	v_cndmask_b32_e64 v4, 0, -1, vcc
	s_cselect_b64 vcc, -1, 0
	v_cndmask_b32_e32 v4, -1, v4, vcc
	v_cmp_ne_u32_e32 vcc, 0, v4
	s_nop 1
	v_cndmask_b32_e32 v4, v13, v5, vcc
	v_xor_b32_e32 v4, s0, v4
	v_subrev_co_u32_e32 v4, vcc, s0, v4
	s_cbranch_execnz .LBB25_11
.LBB25_10:
	s_sub_i32 s0, 0, s22
	v_mul_lo_u32 v4, s0, v11
	v_mul_hi_u32 v4, v11, v4
	v_add_u32_e32 v4, v11, v4
	v_mul_hi_u32 v4, s2, v4
	v_mul_lo_u32 v13, v4, s22
	v_sub_u32_e32 v13, s2, v13
	v_add_u32_e32 v5, 1, v4
	v_subrev_u32_e32 v14, s22, v13
	v_cmp_le_u32_e32 vcc, s22, v13
	s_nop 1
	v_cndmask_b32_e32 v13, v13, v14, vcc
	v_cndmask_b32_e32 v4, v4, v5, vcc
	v_add_u32_e32 v5, 1, v4
	v_cmp_le_u32_e32 vcc, s22, v13
	s_nop 1
	v_cndmask_b32_e32 v4, v4, v5, vcc
.LBB25_11:
	v_cmp_ne_u32_e32 vcc, v8, v4
	s_cbranch_vccz .LBB25_14
; %bb.12:
	s_add_i32 s20, s12, s21
	v_mul_hi_u32 v5, v4, s16
	s_add_i32 s0, s20, s22
	s_mov_b32 s1, s6
	v_add_u32_e32 v5, v5, v4
	s_lshl_b64 s[0:1], s[0:1], 3
	v_lshrrev_b32_e32 v5, s17, v5
	s_add_u32 s2, s10, s0
	v_mul_lo_u32 v13, v5, s18
	s_addc_u32 s3, s11, s1
	v_cmp_eq_u32_e32 vcc, v13, v4
	v_cmp_gt_u32_e64 s[0:1], s19, v5
	s_or_b64 s[0:1], s[0:1], vcc
	s_and_b64 vcc, exec, s[0:1]
	s_cbranch_vccnz .LBB25_16
; %bb.13:
	s_add_i32 s7, s12, -1
	s_mov_b64 s[0:1], 0
	s_branch .LBB25_17
.LBB25_14:
                                        ; implicit-def: $sgpr0_sgpr1
                                        ; implicit-def: $vgpr14
                                        ; implicit-def: $vgpr5
                                        ; implicit-def: $vgpr13
                                        ; implicit-def: $sgpr7
                                        ; implicit-def: $vgpr4
	s_branch .LBB25_18
.LBB25_15:
                                        ; implicit-def: $vgpr4_vgpr5
	s_branch .LBB25_10
.LBB25_16:
	s_mov_b64 s[0:1], -1
	s_mov_b32 s7, s12
	v_mov_b32_e32 v4, v8
.LBB25_17:
	v_lshl_or_b32 v14, s20, 8, v0
	v_ashrrev_i32_e32 v15, 31, v14
	v_lshl_add_u64 v[14:15], v[14:15], 2, s[4:5]
	global_load_dword v14, v[14:15], off
	s_load_dwordx2 s[2:3], s[2:3], 0x0
	v_max_f32_e32 v5, v7, v7
	s_waitcnt lgkmcnt(0)
	v_max_f32_e64 v13, s2, s2
	v_max_f32_e32 v5, v5, v13
	v_sub_f32_e32 v13, v7, v5
	v_sub_f32_e32 v15, s2, v5
	v_mul_f32_e32 v16, 0x3fb8aa3b, v13
	v_mul_f32_e32 v17, 0x3fb8aa3b, v15
	v_fma_f32 v18, v13, s8, -v16
	v_rndne_f32_e32 v19, v16
	v_fma_f32 v20, v15, s8, -v17
	v_rndne_f32_e32 v21, v17
	v_fmac_f32_e32 v18, 0x32a5705f, v13
	v_sub_f32_e32 v16, v16, v19
	v_fmac_f32_e32 v20, 0x32a5705f, v15
	v_sub_f32_e32 v17, v17, v21
	v_add_f32_e32 v16, v16, v18
	v_cvt_i32_f32_e32 v19, v19
	v_add_f32_e32 v17, v17, v20
	v_exp_f32_e32 v16, v16
	v_cvt_i32_f32_e32 v21, v21
	v_exp_f32_e32 v17, v17
	v_cmp_ngt_f32_e32 vcc, s9, v13
	v_ldexp_f32 v16, v16, v19
	v_ldexp_f32 v17, v17, v21
	v_cndmask_b32_e32 v16, 0, v16, vcc
	v_cmp_ngt_f32_e32 vcc, s9, v15
	s_nop 1
	v_cndmask_b32_e32 v17, 0, v17, vcc
	v_cmp_nlt_f32_e32 vcc, s13, v13
	s_nop 1
	v_cndmask_b32_e32 v16, v12, v16, vcc
	v_cmp_nlt_f32_e32 vcc, s13, v15
	s_nop 1
	v_cndmask_b32_e32 v17, v12, v17, vcc
	v_cmp_le_f32_e32 vcc, s14, v13
	s_nop 1
	v_cndmask_b32_e32 v16, 0, v16, vcc
	v_cmp_le_f32_e32 vcc, s14, v15
	s_nop 1
	v_cndmask_b32_e32 v15, 0, v17, vcc
	v_mul_f32_e32 v13, s3, v15
	v_fmac_f32_e32 v13, v6, v16
	s_waitcnt vmcnt(0)
	v_mul_f32_e32 v14, v14, v15
	v_fmac_f32_e32 v14, v1, v16
	s_cbranch_execnz .LBB25_19
.LBB25_18:
	s_add_i32 s7, s12, -1
	s_mov_b64 s[0:1], 0
	v_mov_b32_e32 v4, v8
	v_mov_b32_e32 v13, v6
	v_mov_b32_e32 v5, v7
	s_waitcnt vmcnt(0)
	v_mov_b32_e32 v14, v1
.LBB25_19:
	s_andn2_b64 vcc, exec, s[0:1]
	s_cbranch_vccz .LBB25_23
; %bb.20:
	v_mov_b32_e32 v8, v4
	s_mov_b32 s12, s7
	v_mov_b32_e32 v6, v13
	v_mov_b32_e32 v7, v5
	s_waitcnt vmcnt(0)
	v_mov_b32_e32 v1, v14
	s_mul_hi_i32 s7, s12, s15
	s_cmp_lg_u64 s[6:7], 0
	s_mul_i32 s2, s12, s15
	s_cbranch_scc1 .LBB25_9
	s_branch .LBB25_15
.LBB25_21:
                                        ; implicit-def: $sgpr20_sgpr21
	s_load_dwordx4 s[16:19], s[0:1], 0x44
	s_branch .LBB25_2
.LBB25_22:
                                        ; implicit-def: $vgpr2_vgpr3
	s_branch .LBB25_5
.LBB25_23:
	v_div_scale_f32 v0, s[0:1], v13, v13, v14
	s_waitcnt vmcnt(0)
	v_rcp_f32_e32 v1, v0
	v_div_scale_f32 v4, vcc, v14, v13, v14
	v_fma_f32 v5, -v0, v1, 1.0
	v_fmac_f32_e32 v1, v5, v1
	v_mul_f32_e32 v5, v4, v1
	v_fma_f32 v6, -v0, v5, v4
	v_fmac_f32_e32 v5, v6, v1
	v_fma_f32 v0, -v0, v5, v4
	v_div_fmas_f32 v0, v0, v1, v5
	v_div_fixup_f32 v0, v0, v13, v14
	global_store_dword v[2:3], v0, off
.LBB25_24:
	s_endpgm
	.section	.rodata,"a",@progbits
	.p2align	6, 0x0
	.amdhsa_kernel _ZL33flash_attn_stream_k_fixup_generalILi256ELi1ELi1EEvPfPK15HIP_vector_typeIfLj2EEiiiiS1_IjLj3EES5_S5_S5_
		.amdhsa_group_segment_fixed_size 0
		.amdhsa_private_segment_fixed_size 0
		.amdhsa_kernarg_size 336
		.amdhsa_user_sgpr_count 2
		.amdhsa_user_sgpr_dispatch_ptr 0
		.amdhsa_user_sgpr_queue_ptr 0
		.amdhsa_user_sgpr_kernarg_segment_ptr 1
		.amdhsa_user_sgpr_dispatch_id 0
		.amdhsa_user_sgpr_kernarg_preload_length 0
		.amdhsa_user_sgpr_kernarg_preload_offset 0
		.amdhsa_user_sgpr_private_segment_size 0
		.amdhsa_uses_dynamic_stack 0
		.amdhsa_enable_private_segment 0
		.amdhsa_system_sgpr_workgroup_id_x 1
		.amdhsa_system_sgpr_workgroup_id_y 1
		.amdhsa_system_sgpr_workgroup_id_z 1
		.amdhsa_system_sgpr_workgroup_info 0
		.amdhsa_system_vgpr_workitem_id 0
		.amdhsa_next_free_vgpr 22
		.amdhsa_next_free_sgpr 32
		.amdhsa_accum_offset 24
		.amdhsa_reserve_vcc 1
		.amdhsa_float_round_mode_32 0
		.amdhsa_float_round_mode_16_64 0
		.amdhsa_float_denorm_mode_32 3
		.amdhsa_float_denorm_mode_16_64 3
		.amdhsa_dx10_clamp 1
		.amdhsa_ieee_mode 1
		.amdhsa_fp16_overflow 0
		.amdhsa_tg_split 0
		.amdhsa_exception_fp_ieee_invalid_op 0
		.amdhsa_exception_fp_denorm_src 0
		.amdhsa_exception_fp_ieee_div_zero 0
		.amdhsa_exception_fp_ieee_overflow 0
		.amdhsa_exception_fp_ieee_underflow 0
		.amdhsa_exception_fp_ieee_inexact 0
		.amdhsa_exception_int_div_zero 0
	.end_amdhsa_kernel
	.section	.text._ZL33flash_attn_stream_k_fixup_generalILi256ELi1ELi1EEvPfPK15HIP_vector_typeIfLj2EEiiiiS1_IjLj3EES5_S5_S5_,"axG",@progbits,_ZL33flash_attn_stream_k_fixup_generalILi256ELi1ELi1EEvPfPK15HIP_vector_typeIfLj2EEiiiiS1_IjLj3EES5_S5_S5_,comdat
.Lfunc_end25:
	.size	_ZL33flash_attn_stream_k_fixup_generalILi256ELi1ELi1EEvPfPK15HIP_vector_typeIfLj2EEiiiiS1_IjLj3EES5_S5_S5_, .Lfunc_end25-_ZL33flash_attn_stream_k_fixup_generalILi256ELi1ELi1EEvPfPK15HIP_vector_typeIfLj2EEiiiiS1_IjLj3EES5_S5_S5_
                                        ; -- End function
	.section	.AMDGPU.csdata,"",@progbits
; Kernel info:
; codeLenInByte = 2820
; NumSgprs: 38
; NumVgprs: 22
; NumAgprs: 0
; TotalNumVgprs: 22
; ScratchSize: 0
; MemoryBound: 0
; FloatMode: 240
; IeeeMode: 1
; LDSByteSize: 0 bytes/workgroup (compile time only)
; SGPRBlocks: 4
; VGPRBlocks: 2
; NumSGPRsForWavesPerEU: 38
; NumVGPRsForWavesPerEU: 22
; AccumOffset: 24
; Occupancy: 8
; WaveLimiterHint : 0
; COMPUTE_PGM_RSRC2:SCRATCH_EN: 0
; COMPUTE_PGM_RSRC2:USER_SGPR: 2
; COMPUTE_PGM_RSRC2:TRAP_HANDLER: 0
; COMPUTE_PGM_RSRC2:TGID_X_EN: 1
; COMPUTE_PGM_RSRC2:TGID_Y_EN: 1
; COMPUTE_PGM_RSRC2:TGID_Z_EN: 1
; COMPUTE_PGM_RSRC2:TIDIG_COMP_CNT: 0
; COMPUTE_PGM_RSRC3_GFX90A:ACCUM_OFFSET: 5
; COMPUTE_PGM_RSRC3_GFX90A:TG_SPLIT: 0
	.section	.text._ZL26flash_attn_combine_resultsILi256EEvPKfPK15HIP_vector_typeIfLj2EEPfi,"axG",@progbits,_ZL26flash_attn_combine_resultsILi256EEvPKfPK15HIP_vector_typeIfLj2EEPfi,comdat
	.globl	_ZL26flash_attn_combine_resultsILi256EEvPKfPK15HIP_vector_typeIfLj2EEPfi ; -- Begin function _ZL26flash_attn_combine_resultsILi256EEvPKfPK15HIP_vector_typeIfLj2EEPfi
	.p2align	8
	.type	_ZL26flash_attn_combine_resultsILi256EEvPKfPK15HIP_vector_typeIfLj2EEPfi,@function
_ZL26flash_attn_combine_resultsILi256EEvPKfPK15HIP_vector_typeIfLj2EEPfi: ; @_ZL26flash_attn_combine_resultsILi256EEvPKfPK15HIP_vector_typeIfLj2EEPfi
; %bb.0:
	s_load_dwordx2 s[6:7], s[0:1], 0x20
	s_load_dword s19, s[0:1], 0x18
	s_load_dwordx4 s[8:11], s[0:1], 0x0
	s_load_dwordx2 s[14:15], s[0:1], 0x10
	s_waitcnt lgkmcnt(0)
	s_mul_i32 s0, s6, s4
	s_add_i32 s0, s0, s2
	s_mul_i32 s18, s0, s7
	s_add_i32 s18, s18, s3
	s_lshl_b32 s20, s19, 1
	s_mul_i32 s0, s18, s19
	v_cmp_gt_i32_e32 vcc, s20, v0
	s_and_saveexec_b64 s[2:3], vcc
	s_cbranch_execz .LBB26_13
; %bb.1:
	v_xad_u32 v1, v0, -1, s20
	s_movk_i32 s4, 0xff
	s_ashr_i32 s1, s0, 31
	v_cmp_lt_u32_e32 vcc, s4, v1
	s_mov_b64 s[6:7], -1
	v_mov_b32_e32 v2, v0
	s_and_saveexec_b64 s[4:5], vcc
	s_cbranch_execz .LBB26_10
; %bb.2:
	v_lshrrev_b32_e32 v6, 8, v1
	s_lshl_b64 s[6:7], s[0:1], 3
	v_add_u32_e32 v2, -1, v6
	s_add_u32 s6, s10, s6
	v_or_b32_e32 v1, 0x100, v0
	v_lshrrev_b32_e32 v3, 1, v2
	s_addc_u32 s7, s11, s7
	v_add_u32_e32 v7, 1, v3
	v_cmp_lt_u32_e32 vcc, 13, v2
	v_mov_b32_e32 v4, 0
	v_mov_b64_e32 v[2:3], v[0:1]
	s_and_saveexec_b64 s[12:13], vcc
	s_cbranch_execz .LBB26_6
; %bb.3:
	v_and_b32_e32 v8, -8, v7
	s_mov_b32 s21, 0
	v_lshl_add_u32 v9, v0, 2, 0
	s_mov_b64 s[16:17], 0
	v_mov_b32_e32 v5, 0
	v_mov_b64_e32 v[2:3], v[0:1]
.LBB26_4:                               ; =>This Inner Loop Header: Depth=1
	v_mov_b32_e32 v4, v2
	v_lshl_add_u64 v[24:25], v[4:5], 2, s[6:7]
	v_mov_b32_e32 v4, v3
	v_lshl_add_u64 v[26:27], v[4:5], 2, s[6:7]
	v_add_u32_e32 v4, 0x200, v2
	v_add_u32_e32 v10, 0x200, v3
	v_mov_b32_e32 v11, v5
	global_load_dword v1, v[24:25], off
	global_load_dword v28, v[26:27], off
	v_lshl_add_u64 v[24:25], v[4:5], 2, s[6:7]
	v_add_u32_e32 v4, 0x400, v2
	v_lshl_add_u64 v[10:11], v[10:11], 2, s[6:7]
	v_lshl_add_u64 v[26:27], v[4:5], 2, s[6:7]
	v_add_u32_e32 v4, 0x600, v2
	v_add_u32_e32 v12, 0x400, v3
	v_mov_b32_e32 v13, v5
	v_add_u32_e32 v14, 0x600, v3
	v_mov_b32_e32 v15, v5
	global_load_dword v29, v[24:25], off
	global_load_dword v30, v[10:11], off
	v_lshl_add_u64 v[10:11], v[4:5], 2, s[6:7]
	v_add_u32_e32 v4, 0x800, v2
	v_lshl_add_u64 v[12:13], v[12:13], 2, s[6:7]
	v_lshl_add_u64 v[14:15], v[14:15], 2, s[6:7]
	global_load_dword v24, v[26:27], off
	global_load_dword v25, v[12:13], off
	;; [unrolled: 1-line block ×4, first 2 shown]
	v_lshl_add_u64 v[10:11], v[4:5], 2, s[6:7]
	v_add_u32_e32 v4, 0xa00, v2
	v_add_u32_e32 v16, 0x800, v3
	v_mov_b32_e32 v17, v5
	v_add_u32_e32 v18, 0xa00, v3
	v_mov_b32_e32 v19, v5
	v_lshl_add_u64 v[12:13], v[4:5], 2, s[6:7]
	v_add_u32_e32 v4, 0xc00, v2
	v_add_u32_e32 v20, 0xc00, v3
	v_mov_b32_e32 v21, v5
	v_add_u32_e32 v22, 0xe00, v3
	v_mov_b32_e32 v23, v5
	v_lshl_add_u64 v[16:17], v[16:17], 2, s[6:7]
	v_lshl_add_u64 v[18:19], v[18:19], 2, s[6:7]
	global_load_dword v14, v[10:11], off
	global_load_dword v15, v[16:17], off
	v_lshl_add_u64 v[10:11], v[4:5], 2, s[6:7]
	v_add_u32_e32 v4, 0xe00, v2
	v_lshl_add_u64 v[20:21], v[20:21], 2, s[6:7]
	v_lshl_add_u64 v[22:23], v[22:23], 2, s[6:7]
	global_load_dword v16, v[12:13], off
	global_load_dword v17, v[18:19], off
	v_lshl_add_u64 v[12:13], v[4:5], 2, s[6:7]
	global_load_dword v18, v[10:11], off
	global_load_dword v19, v[20:21], off
	;; [unrolled: 1-line block ×4, first 2 shown]
	v_add_u32_e32 v8, -8, v8
	s_add_i32 s21, s21, 16
	v_cmp_eq_u32_e32 vcc, 0, v8
	v_add_u32_e32 v3, 0x1000, v3
	v_mov_b32_e32 v4, s21
	s_or_b64 s[16:17], vcc, s[16:17]
	v_add_u32_e32 v2, 0x1000, v2
	s_waitcnt vmcnt(14)
	ds_write2st64_b32 v9, v1, v28 offset1:4
	s_waitcnt vmcnt(12)
	ds_write2st64_b32 v9, v29, v30 offset0:8 offset1:12
	s_waitcnt vmcnt(10)
	ds_write2st64_b32 v9, v24, v25 offset0:16 offset1:20
	;; [unrolled: 2-line block ×7, first 2 shown]
	v_add_u32_e32 v9, 0x4000, v9
	s_andn2_b64 exec, exec, s[16:17]
	s_cbranch_execnz .LBB26_4
; %bb.5:
	s_or_b64 exec, exec, s[16:17]
.LBB26_6:
	s_or_b64 exec, exec, s[12:13]
	v_and_b32_e32 v1, 7, v7
	v_cmp_ne_u32_e32 vcc, 0, v1
	s_and_saveexec_b64 s[12:13], vcc
	s_cbranch_execz .LBB26_9
; %bb.7:
	v_lshlrev_b32_e32 v5, 2, v0
	v_lshl_or_b32 v4, v4, 10, v5
	v_add_u32_e32 v7, 0, v4
	s_mov_b64 s[16:17], 0
	v_mov_b32_e32 v5, 0
.LBB26_8:                               ; =>This Inner Loop Header: Depth=1
	v_mov_b32_e32 v4, v2
	v_lshl_add_u64 v[8:9], v[4:5], 2, s[6:7]
	v_mov_b32_e32 v4, v3
	v_lshl_add_u64 v[10:11], v[4:5], 2, s[6:7]
	global_load_dword v4, v[8:9], off
	global_load_dword v12, v[10:11], off
	v_add_u32_e32 v1, -1, v1
	v_cmp_eq_u32_e32 vcc, 0, v1
	v_add_u32_e32 v2, 0x200, v2
	v_add_u32_e32 v3, 0x200, v3
	s_or_b64 s[16:17], vcc, s[16:17]
	s_waitcnt vmcnt(0)
	ds_write2st64_b32 v7, v4, v12 offset1:4
	v_add_u32_e32 v7, 0x800, v7
	s_andn2_b64 exec, exec, s[16:17]
	s_cbranch_execnz .LBB26_8
.LBB26_9:
	s_or_b64 exec, exec, s[12:13]
	v_add_u32_e32 v1, 1, v6
	v_and_b32_e32 v3, 0x1fffffe, v1
	v_cmp_ne_u32_e32 vcc, v1, v3
	v_lshl_or_b32 v2, v3, 8, v0
	s_orn2_b64 s[6:7], vcc, exec
.LBB26_10:
	s_or_b64 exec, exec, s[4:5]
	s_and_b64 exec, exec, s[6:7]
	s_cbranch_execz .LBB26_13
; %bb.11:
	s_lshl_b64 s[4:5], s[0:1], 3
	s_add_u32 s4, s10, s4
	v_mov_b32_e32 v3, 0
	s_addc_u32 s5, s11, s5
	v_lshl_add_u64 v[4:5], v[2:3], 2, s[4:5]
	v_lshl_add_u32 v1, v2, 2, 0
	s_mov_b64 s[4:5], 0
	s_mov_b64 s[6:7], 0x400
.LBB26_12:                              ; =>This Inner Loop Header: Depth=1
	global_load_dword v3, v[4:5], off
	v_add_u32_e32 v2, 0x100, v2
	v_cmp_le_i32_e32 vcc, s20, v2
	v_lshl_add_u64 v[4:5], v[4:5], 0, s[6:7]
	s_or_b64 s[4:5], vcc, s[4:5]
	s_waitcnt vmcnt(0)
	ds_write_b32 v1, v3
	v_add_u32_e32 v1, 0x400, v1
	s_andn2_b64 exec, exec, s[4:5]
	s_cbranch_execnz .LBB26_12
.LBB26_13:
	s_or_b64 exec, exec, s[2:3]
	v_mov_b32_e32 v1, 0
	s_waitcnt lgkmcnt(0)
	s_barrier
	ds_read_b32 v1, v1
	s_cmp_lt_i32 s19, 2
	s_cbranch_scc1 .LBB26_21
; %bb.14:
	s_add_i32 s1, s19, -1
	s_add_i32 s2, s19, -2
	s_cmp_lt_u32 s2, 7
	s_cbranch_scc1 .LBB26_18
; %bb.15:
	s_mov_b32 s4, 0
	s_add_i32 s2, 0, 8
	s_and_b32 s3, s1, -8
.LBB26_16:                              ; =>This Inner Loop Header: Depth=1
	v_mov_b32_e32 v8, s2
	ds_read2_b32 v[2:3], v8 offset1:2
	ds_read2_b32 v[4:5], v8 offset0:4 offset1:6
	ds_read2_b32 v[6:7], v8 offset0:8 offset1:10
	;; [unrolled: 1-line block ×3, first 2 shown]
	s_mov_b32 s5, s4
	s_waitcnt lgkmcnt(3)
	v_max3_f32 v1, v1, v2, v3
	s_waitcnt lgkmcnt(2)
	v_max3_f32 v1, v1, v4, v5
	s_add_i32 s2, s2, 64
	s_add_i32 s4, s4, 8
	s_waitcnt lgkmcnt(1)
	v_max3_f32 v1, v1, v6, v7
	s_cmp_eq_u32 s3, s4
	s_waitcnt lgkmcnt(0)
	v_max3_f32 v1, v1, v8, v9
	s_cbranch_scc0 .LBB26_16
; %bb.17:
	s_add_i32 s2, s5, 9
	s_and_b32 s1, s1, 7
	s_cmp_eq_u32 s1, 0
	s_cbranch_scc0 .LBB26_19
	s_branch .LBB26_21
.LBB26_18:
	s_mov_b32 s2, 1
	s_and_b32 s1, s1, 7
	s_cmp_eq_u32 s1, 0
	s_cbranch_scc1 .LBB26_21
.LBB26_19:
	s_lshl_b32 s2, s2, 3
	s_add_i32 s2, s2, 0
.LBB26_20:                              ; =>This Inner Loop Header: Depth=1
	v_mov_b32_e32 v2, s2
	ds_read_b32 v2, v2
	s_waitcnt lgkmcnt(1)
	v_max_f32_e32 v1, v1, v1
	s_add_i32 s2, s2, 8
	s_add_i32 s1, s1, -1
	s_cmp_lg_u32 s1, 0
	s_waitcnt lgkmcnt(0)
	v_max_f32_e32 v2, v2, v2
	v_max_f32_e32 v1, v1, v2
	s_cbranch_scc1 .LBB26_20
.LBB26_21:
	s_cmp_lt_i32 s19, 1
	s_cbranch_scc1 .LBB26_26
; %bb.22:
	s_lshl_b32 s0, s0, 8
	s_ashr_i32 s1, s0, 31
	s_lshl_b64 s[0:1], s[0:1], 2
	s_add_u32 s16, s8, s0
	s_addc_u32 s17, s9, s1
	s_cmp_lt_u32 s19, 8
	v_mov_b32_e32 v6, 0
	s_cbranch_scc1 .LBB26_27
; %bb.23:
	s_and_b32 s20, s19, 0x7ffffff8
	v_or_b32_e32 v2, 0x700, v0
	s_mov_b32 s21, 0
	v_mov_b32_e32 v5, 0
	s_mov_b32 s22, 0x3fb8aa3b
	s_mov_b32 s23, 0xc2ce8ed0
	;; [unrolled: 1-line block ×3, first 2 shown]
	v_mov_b32_e32 v8, 0x7f800000
	s_mov_b32 s25, 0
	v_mov_b32_e32 v7, 0
	v_mov_b32_e32 v6, 0
.LBB26_24:                              ; =>This Inner Loop Header: Depth=1
	v_add_u32_e32 v4, 0xfffff900, v2
	v_mov_b32_e32 v9, s21
	v_mov_b32_e32 v3, v5
	v_lshl_add_u64 v[26:27], v[4:5], 2, s[16:17]
	v_add_u32_e32 v4, 0xfffffa00, v2
	ds_read2_b64 v[10:13], v9 offset1:1
	ds_read2_b64 v[14:17], v9 offset0:2 offset1:3
	ds_read2_b64 v[18:21], v9 offset0:4 offset1:5
	;; [unrolled: 1-line block ×3, first 2 shown]
	v_lshl_add_u64 v[28:29], v[2:3], 2, s[16:17]
	v_lshl_add_u64 v[30:31], v[4:5], 2, s[16:17]
	v_add_u32_e32 v4, 0xfffffb00, v2
	global_load_dword v3, v[26:27], off
	global_load_dword v9, v[30:31], off
	s_waitcnt lgkmcnt(3)
	v_sub_f32_e32 v10, v10, v1
	global_load_dword v28, v[28:29], off
	v_lshl_add_u64 v[26:27], v[4:5], 2, s[16:17]
	global_load_dword v32, v[26:27], off
	v_add_u32_e32 v4, 0xfffffc00, v2
	v_lshl_add_u64 v[30:31], v[4:5], 2, s[16:17]
	v_add_u32_e32 v4, 0xfffffd00, v2
	v_lshl_add_u64 v[26:27], v[4:5], 2, s[16:17]
	v_add_u32_e32 v4, 0xfffffe00, v2
	global_load_dword v33, v[30:31], off
	global_load_dword v34, v[26:27], off
	v_lshl_add_u64 v[30:31], v[4:5], 2, s[16:17]
	v_add_u32_e32 v4, 0xffffff00, v2
	v_lshl_add_u64 v[26:27], v[4:5], 2, s[16:17]
	global_load_dword v30, v[30:31], off
	v_sub_f32_e32 v12, v12, v1
	global_load_dword v26, v[26:27], off
	v_mul_f32_e32 v35, 0x3fb8aa3b, v10
	v_mul_f32_e32 v36, 0x3fb8aa3b, v12
	s_waitcnt lgkmcnt(2)
	v_sub_f32_e32 v14, v14, v1
	v_sub_f32_e32 v16, v16, v1
	s_waitcnt lgkmcnt(1)
	v_sub_f32_e32 v18, v18, v1
	v_sub_f32_e32 v20, v20, v1
	s_waitcnt lgkmcnt(0)
	v_sub_f32_e32 v22, v22, v1
	v_fma_f32 v31, v10, s22, -v35
	v_rndne_f32_e32 v42, v35
	v_fma_f32 v43, v12, s22, -v36
	v_rndne_f32_e32 v44, v36
	v_mul_f32_e32 v37, 0x3fb8aa3b, v14
	v_mul_f32_e32 v38, 0x3fb8aa3b, v16
	;; [unrolled: 1-line block ×5, first 2 shown]
	v_fmac_f32_e32 v31, 0x32a5705f, v10
	v_sub_f32_e32 v35, v35, v42
	v_fmac_f32_e32 v43, 0x32a5705f, v12
	v_sub_f32_e32 v36, v36, v44
	v_fma_f32 v45, v14, s22, -v37
	v_rndne_f32_e32 v46, v37
	v_fma_f32 v47, v16, s22, -v38
	v_rndne_f32_e32 v48, v38
	;; [unrolled: 2-line block ×4, first 2 shown]
	v_add_f32_e32 v31, v35, v31
	v_fma_f32 v35, v22, s22, -v41
	v_add_f32_e32 v36, v36, v43
	v_rndne_f32_e32 v43, v41
	v_fmac_f32_e32 v45, 0x32a5705f, v14
	v_sub_f32_e32 v37, v37, v46
	v_fmac_f32_e32 v47, 0x32a5705f, v16
	v_sub_f32_e32 v38, v38, v48
	v_cvt_i32_f32_e32 v42, v42
	v_fmac_f32_e32 v49, 0x32a5705f, v18
	v_sub_f32_e32 v39, v39, v50
	v_fmac_f32_e32 v27, 0x32a5705f, v20
	v_sub_f32_e32 v40, v40, v29
	;; [unrolled: 2-line block ×3, first 2 shown]
	v_exp_f32_e32 v31, v31
	v_add_f32_e32 v37, v37, v45
	v_add_f32_e32 v38, v38, v47
	v_cvt_i32_f32_e32 v44, v44
	v_add_f32_e32 v39, v39, v49
	v_add_f32_e32 v27, v40, v27
	v_add_f32_e32 v35, v41, v35
	v_exp_f32_e32 v36, v36
	v_sub_f32_e32 v24, v24, v1
	v_cvt_i32_f32_e32 v46, v46
	v_cvt_i32_f32_e32 v48, v48
	;; [unrolled: 1-line block ×5, first 2 shown]
	v_exp_f32_e32 v37, v37
	v_exp_f32_e32 v38, v38
	;; [unrolled: 1-line block ×5, first 2 shown]
	v_mul_f32_e32 v4, 0x3fb8aa3b, v24
	v_fma_f32 v45, v24, s22, -v4
	v_rndne_f32_e32 v47, v4
	v_ldexp_f32 v31, v31, v42
	v_cmp_ngt_f32_e64 s[12:13], s23, v10
	v_fmac_f32_e32 v45, 0x32a5705f, v24
	v_sub_f32_e32 v4, v4, v47
	v_ldexp_f32 v36, v36, v44
	v_cmp_ngt_f32_e32 vcc, s23, v12
	v_cndmask_b32_e64 v31, 0, v31, s[12:13]
	v_cmp_nlt_f32_e64 s[12:13], s24, v10
	v_add_f32_e32 v4, v4, v45
	v_ldexp_f32 v37, v37, v46
	v_cmp_ngt_f32_e64 s[0:1], s23, v14
	v_ldexp_f32 v38, v38, v48
	v_cmp_ngt_f32_e64 s[2:3], s23, v16
	;; [unrolled: 2-line block ×5, first 2 shown]
	v_cndmask_b32_e32 v35, 0, v36, vcc
	v_cmp_nlt_f32_e32 vcc, s24, v12
	v_cndmask_b32_e64 v10, v8, v31, s[12:13]
	v_cvt_i32_f32_e32 v47, v47
	v_exp_f32_e32 v4, v4
	v_cndmask_b32_e64 v12, 0, v37, s[0:1]
	v_cmp_nlt_f32_e64 s[0:1], s24, v14
	v_cndmask_b32_e64 v14, 0, v38, s[2:3]
	v_cmp_nlt_f32_e64 s[2:3], s24, v16
	;; [unrolled: 2-line block ×5, first 2 shown]
	v_cndmask_b32_e32 v22, v8, v35, vcc
	v_fmac_f32_e32 v7, v10, v11
	s_waitcnt vmcnt(7)
	v_fmac_f32_e32 v6, v3, v10
	v_cndmask_b32_e64 v12, v8, v12, s[0:1]
	v_fmac_f32_e32 v7, v22, v13
	s_waitcnt vmcnt(6)
	v_fmac_f32_e32 v6, v9, v22
	v_cndmask_b32_e64 v14, v8, v14, s[2:3]
	v_fmac_f32_e32 v7, v12, v15
	s_waitcnt vmcnt(4)
	v_fmac_f32_e32 v6, v32, v12
	v_cndmask_b32_e64 v16, v8, v16, s[4:5]
	v_fmac_f32_e32 v7, v14, v17
	s_waitcnt vmcnt(3)
	v_fmac_f32_e32 v6, v33, v14
	v_ldexp_f32 v4, v4, v47
	v_cmp_ngt_f32_e64 s[10:11], s23, v24
	v_cndmask_b32_e64 v18, v8, v18, s[6:7]
	v_fmac_f32_e32 v7, v16, v19
	s_waitcnt vmcnt(2)
	v_fmac_f32_e32 v6, v34, v16
	v_cndmask_b32_e64 v4, 0, v4, s[10:11]
	v_cmp_nlt_f32_e64 s[10:11], s24, v24
	v_cndmask_b32_e64 v20, v8, v20, s[8:9]
	v_fmac_f32_e32 v7, v18, v21
	s_waitcnt vmcnt(1)
	v_fmac_f32_e32 v6, v30, v18
	s_add_i32 s25, s25, 8
	s_add_i32 s21, s21, 64
	v_cndmask_b32_e64 v4, v8, v4, s[10:11]
	v_fmac_f32_e32 v7, v20, v23
	s_waitcnt vmcnt(0)
	v_fmac_f32_e32 v6, v26, v20
	s_cmp_eq_u32 s20, s25
	v_add_u32_e32 v2, 0x800, v2
	v_fmac_f32_e32 v7, v4, v25
	v_fmac_f32_e32 v6, v28, v4
	s_cbranch_scc0 .LBB26_24
; %bb.25:
	s_and_b32 s0, s19, 7
	s_cmp_eq_u32 s0, 0
	s_cbranch_scc0 .LBB26_28
	s_branch .LBB26_30
.LBB26_26:
	s_waitcnt lgkmcnt(0)
	v_mov_b32_e32 v1, 0x7fc00000
	s_branch .LBB26_31
.LBB26_27:
	s_mov_b32 s20, 0
	v_mov_b32_e32 v7, 0
	s_and_b32 s0, s19, 7
	s_cmp_eq_u32 s0, 0
	s_cbranch_scc1 .LBB26_30
.LBB26_28:
	s_lshl_b32 s1, s20, 3
	v_lshl_or_b32 v2, s20, 8, v0
	s_add_i32 s1, s1, 0
	s_mov_b32 s2, 0x3fb8aa3b
	s_mov_b32 s3, 0xc2ce8ed0
	;; [unrolled: 1-line block ×3, first 2 shown]
	v_mov_b32_e32 v4, 0x7f800000
	v_mov_b32_e32 v3, 0
.LBB26_29:                              ; =>This Inner Loop Header: Depth=1
	v_lshl_add_u64 v[8:9], v[2:3], 2, s[16:17]
	global_load_dword v5, v[8:9], off
	v_mov_b32_e32 v8, s1
	ds_read_b64 v[8:9], v8
	s_add_i32 s1, s1, 8
	s_add_i32 s0, s0, -1
	v_add_u32_e32 v2, 0x100, v2
	s_cmp_lg_u32 s0, 0
	s_waitcnt lgkmcnt(0)
	v_sub_f32_e32 v8, v8, v1
	v_mul_f32_e32 v10, 0x3fb8aa3b, v8
	v_fma_f32 v11, v8, s2, -v10
	v_rndne_f32_e32 v12, v10
	v_fmac_f32_e32 v11, 0x32a5705f, v8
	v_sub_f32_e32 v10, v10, v12
	v_add_f32_e32 v10, v10, v11
	v_cvt_i32_f32_e32 v12, v12
	v_exp_f32_e32 v10, v10
	v_cmp_ngt_f32_e32 vcc, s3, v8
	v_ldexp_f32 v10, v10, v12
	s_nop 0
	v_cndmask_b32_e32 v10, 0, v10, vcc
	v_cmp_nlt_f32_e32 vcc, s4, v8
	s_nop 1
	v_cndmask_b32_e32 v8, v4, v10, vcc
	v_fmac_f32_e32 v7, v8, v9
	s_waitcnt vmcnt(0)
	v_fmac_f32_e32 v6, v5, v8
	s_cbranch_scc1 .LBB26_29
.LBB26_30:
	s_waitcnt lgkmcnt(0)
	v_div_scale_f32 v1, s[0:1], v7, v7, v6
	v_rcp_f32_e32 v2, v1
	v_div_scale_f32 v3, vcc, v6, v7, v6
	v_fma_f32 v4, -v1, v2, 1.0
	v_fmac_f32_e32 v2, v4, v2
	v_mul_f32_e32 v4, v3, v2
	v_fma_f32 v5, -v1, v4, v3
	v_fmac_f32_e32 v4, v5, v2
	v_fma_f32 v1, -v1, v4, v3
	v_div_fmas_f32 v1, v1, v2, v4
	v_div_fixup_f32 v1, v1, v7, v6
.LBB26_31:
	s_lshl_b32 s0, s18, 8
	s_ashr_i32 s1, s0, 31
	s_lshl_b64 s[0:1], s[0:1], 2
	s_add_u32 s0, s14, s0
	s_addc_u32 s1, s15, s1
	v_lshlrev_b32_e32 v0, 2, v0
	global_store_dword v0, v1, s[0:1]
	s_endpgm
	.section	.rodata,"a",@progbits
	.p2align	6, 0x0
	.amdhsa_kernel _ZL26flash_attn_combine_resultsILi256EEvPKfPK15HIP_vector_typeIfLj2EEPfi
		.amdhsa_group_segment_fixed_size 0
		.amdhsa_private_segment_fixed_size 0
		.amdhsa_kernarg_size 288
		.amdhsa_user_sgpr_count 2
		.amdhsa_user_sgpr_dispatch_ptr 0
		.amdhsa_user_sgpr_queue_ptr 0
		.amdhsa_user_sgpr_kernarg_segment_ptr 1
		.amdhsa_user_sgpr_dispatch_id 0
		.amdhsa_user_sgpr_kernarg_preload_length 0
		.amdhsa_user_sgpr_kernarg_preload_offset 0
		.amdhsa_user_sgpr_private_segment_size 0
		.amdhsa_uses_dynamic_stack 0
		.amdhsa_enable_private_segment 0
		.amdhsa_system_sgpr_workgroup_id_x 1
		.amdhsa_system_sgpr_workgroup_id_y 1
		.amdhsa_system_sgpr_workgroup_id_z 1
		.amdhsa_system_sgpr_workgroup_info 0
		.amdhsa_system_vgpr_workitem_id 0
		.amdhsa_next_free_vgpr 51
		.amdhsa_next_free_sgpr 26
		.amdhsa_accum_offset 52
		.amdhsa_reserve_vcc 1
		.amdhsa_float_round_mode_32 0
		.amdhsa_float_round_mode_16_64 0
		.amdhsa_float_denorm_mode_32 3
		.amdhsa_float_denorm_mode_16_64 3
		.amdhsa_dx10_clamp 1
		.amdhsa_ieee_mode 1
		.amdhsa_fp16_overflow 0
		.amdhsa_tg_split 0
		.amdhsa_exception_fp_ieee_invalid_op 0
		.amdhsa_exception_fp_denorm_src 0
		.amdhsa_exception_fp_ieee_div_zero 0
		.amdhsa_exception_fp_ieee_overflow 0
		.amdhsa_exception_fp_ieee_underflow 0
		.amdhsa_exception_fp_ieee_inexact 0
		.amdhsa_exception_int_div_zero 0
	.end_amdhsa_kernel
	.section	.text._ZL26flash_attn_combine_resultsILi256EEvPKfPK15HIP_vector_typeIfLj2EEPfi,"axG",@progbits,_ZL26flash_attn_combine_resultsILi256EEvPKfPK15HIP_vector_typeIfLj2EEPfi,comdat
.Lfunc_end26:
	.size	_ZL26flash_attn_combine_resultsILi256EEvPKfPK15HIP_vector_typeIfLj2EEPfi, .Lfunc_end26-_ZL26flash_attn_combine_resultsILi256EEvPKfPK15HIP_vector_typeIfLj2EEPfi
                                        ; -- End function
	.section	.AMDGPU.csdata,"",@progbits
; Kernel info:
; codeLenInByte = 2808
; NumSgprs: 32
; NumVgprs: 51
; NumAgprs: 0
; TotalNumVgprs: 51
; ScratchSize: 0
; MemoryBound: 0
; FloatMode: 240
; IeeeMode: 1
; LDSByteSize: 0 bytes/workgroup (compile time only)
; SGPRBlocks: 3
; VGPRBlocks: 6
; NumSGPRsForWavesPerEU: 32
; NumVGPRsForWavesPerEU: 51
; AccumOffset: 52
; Occupancy: 8
; WaveLimiterHint : 0
; COMPUTE_PGM_RSRC2:SCRATCH_EN: 0
; COMPUTE_PGM_RSRC2:USER_SGPR: 2
; COMPUTE_PGM_RSRC2:TRAP_HANDLER: 0
; COMPUTE_PGM_RSRC2:TGID_X_EN: 1
; COMPUTE_PGM_RSRC2:TGID_Y_EN: 1
; COMPUTE_PGM_RSRC2:TGID_Z_EN: 1
; COMPUTE_PGM_RSRC2:TIDIG_COMP_CNT: 0
; COMPUTE_PGM_RSRC3_GFX90A:ACCUM_OFFSET: 12
; COMPUTE_PGM_RSRC3_GFX90A:TG_SPLIT: 0
	.section	.text._ZL18flash_attn_ext_vecILi256ELi1EL9ggml_type2ELS0_30ELb1EEvPKcS2_S2_S2_S2_PKiPfP15HIP_vector_typeIfLj2EEffffjfiS6_IjLj3EEiiiiiiiiiiiliiliiiiil,"axG",@progbits,_ZL18flash_attn_ext_vecILi256ELi1EL9ggml_type2ELS0_30ELb1EEvPKcS2_S2_S2_S2_PKiPfP15HIP_vector_typeIfLj2EEffffjfiS6_IjLj3EEiiiiiiiiiiiliiliiiiil,comdat
	.globl	_ZL18flash_attn_ext_vecILi256ELi1EL9ggml_type2ELS0_30ELb1EEvPKcS2_S2_S2_S2_PKiPfP15HIP_vector_typeIfLj2EEffffjfiS6_IjLj3EEiiiiiiiiiiiliiliiiiil ; -- Begin function _ZL18flash_attn_ext_vecILi256ELi1EL9ggml_type2ELS0_30ELb1EEvPKcS2_S2_S2_S2_PKiPfP15HIP_vector_typeIfLj2EEffffjfiS6_IjLj3EEiiiiiiiiiiiliiliiiiil
	.p2align	8
	.type	_ZL18flash_attn_ext_vecILi256ELi1EL9ggml_type2ELS0_30ELb1EEvPKcS2_S2_S2_S2_PKiPfP15HIP_vector_typeIfLj2EEffffjfiS6_IjLj3EEiiiiiiiiiiiliiliiiiil,@function
_ZL18flash_attn_ext_vecILi256ELi1EL9ggml_type2ELS0_30ELb1EEvPKcS2_S2_S2_S2_PKiPfP15HIP_vector_typeIfLj2EEffffjfiS6_IjLj3EEiiiiiiiiiiiliiliiiiil: ; @_ZL18flash_attn_ext_vecILi256ELi1EL9ggml_type2ELS0_30ELb1EEvPKcS2_S2_S2_S2_PKiPfP15HIP_vector_typeIfLj2EEffffjfiS6_IjLj3EEiiiiiiiiiiiliiliiiiil
; %bb.0:
	s_load_dwordx2 s[34:35], s[0:1], 0x64
	s_load_dwordx2 s[42:43], s[0:1], 0x80
	s_load_dwordx2 s[10:11], s[0:1], 0xb8
	s_load_dwordx4 s[12:15], s[0:1], 0x40
	s_load_dwordx2 s[44:45], s[0:1], 0x50
	s_waitcnt lgkmcnt(0)
	v_cvt_f32_u32_e32 v1, s35
	s_sub_i32 s5, 0, s35
	v_mov_b32_e32 v67, 1.0
	s_mov_b32 s36, s12
	v_rcp_iflag_f32_e32 v1, v1
	s_mov_b32 s37, s13
	v_mul_f32_e32 v1, 0x4f7ffffe, v1
	v_cvt_u32_f32_e32 v1, v1
	s_nop 0
	v_readfirstlane_b32 s6, v1
	s_mul_i32 s5, s5, s6
	s_mul_hi_u32 s5, s6, s5
	s_add_i32 s6, s6, s5
	s_mul_hi_u32 s5, s4, s6
	s_mul_i32 s6, s5, s35
	s_sub_i32 s6, s4, s6
	s_add_i32 s7, s5, 1
	s_sub_i32 s8, s6, s35
	s_cmp_ge_u32 s6, s35
	s_cselect_b32 s5, s7, s5
	s_cselect_b32 s6, s8, s6
	s_add_i32 s7, s5, 1
	s_cmp_ge_u32 s6, s35
	s_cselect_b32 s33, s7, s5
	s_abs_i32 s5, s43
	v_cvt_f32_u32_e32 v1, s5
	s_mul_i32 s8, s33, s35
	s_sub_i32 s9, 0, s5
	s_sub_i32 s40, s4, s8
	v_rcp_iflag_f32_e32 v1, v1
	s_abs_i32 s7, s35
	s_xor_b32 s6, s35, s43
	s_ashr_i32 s6, s6, 31
	v_mul_f32_e32 v1, 0x4f7ffffe, v1
	v_cvt_u32_f32_e32 v1, v1
	s_nop 0
	v_readfirstlane_b32 s4, v1
	s_mul_i32 s9, s9, s4
	s_mul_hi_u32 s8, s4, s9
	s_add_i32 s4, s4, s8
	s_mul_hi_u32 s4, s7, s4
	s_mul_i32 s8, s4, s5
	s_sub_i32 s7, s7, s8
	s_add_i32 s9, s4, 1
	s_sub_i32 s8, s7, s5
	s_cmp_ge_u32 s7, s5
	s_cselect_b32 s4, s9, s4
	s_cselect_b32 s7, s8, s7
	s_add_i32 s8, s4, 1
	s_cmp_ge_u32 s7, s5
	s_cselect_b32 s4, s8, s4
	s_xor_b32 s4, s4, s6
	s_sub_i32 s38, s4, s6
	s_abs_i32 s46, s38
	s_abs_i32 s10, s10
	v_cvt_f32_u32_e32 v1, s46
	v_cvt_f32_u32_e32 v2, s10
	s_sub_i32 s4, 0, s10
	s_sub_i32 s5, 0, s46
	v_rcp_iflag_f32_e32 v1, v1
	v_rcp_iflag_f32_e32 v2, v2
	s_abs_i32 s47, s40
	s_abs_i32 s43, s33
	v_mul_f32_e32 v1, 0x4f7ffffe, v1
	v_mul_f32_e32 v2, 0x4f7ffffe, v2
	v_cvt_u32_f32_e32 v1, v1
	v_cvt_u32_f32_e32 v2, v2
	v_readfirstlane_b32 s16, v1
	v_readfirstlane_b32 s17, v2
	s_mul_i32 s5, s5, s16
	s_mul_i32 s4, s4, s17
	s_mul_hi_u32 s5, s16, s5
	s_mul_hi_u32 s4, s17, s4
	s_add_i32 s16, s16, s5
	s_add_i32 s17, s17, s4
	v_cmp_le_f32_e64 s[4:5], s13, 0
	s_and_b64 vcc, exec, s[4:5]
	s_cbranch_vccnz .LBB27_2
; %bb.1:
	s_sub_i32 s4, s40, s44
	s_lshl_b32 s4, s4, 1
	s_add_i32 s6, s40, 1
	s_or_b32 s7, s4, 1
	s_cmp_lt_u32 s40, s44
	s_cselect_b64 vcc, -1, 0
	s_and_b64 s[4:5], vcc, exec
	v_mov_b32_e32 v1, s15
	v_mov_b32_e32 v2, s14
	s_cselect_b32 s4, s6, s7
	v_cndmask_b32_e32 v18, v1, v2, vcc
	v_cvt_f32_i32_e32 v1, s4
	v_cmp_neq_f32_e32 vcc, 1.0, v18
	s_mov_b32 s4, 0x3f2aaaab
	s_movk_i32 s6, 0x204
	v_cndmask_b32_e32 v19, 1.0, v1, vcc
	v_cmp_eq_f32_e32 vcc, 0, v19
	s_mov_b32 s8, 0x42b17218
	s_mov_b32 s7, 0x7f800000
	v_cndmask_b32_e64 v20, |v18|, 1.0, vcc
	v_frexp_mant_f32_e32 v1, v20
	v_cmp_gt_f32_e64 s[4:5], s4, v1
	s_brev_b32 s13, -2
	s_nop 0
	v_cndmask_b32_e64 v2, 1.0, 2.0, s[4:5]
	v_mul_f32_e32 v1, v1, v2
	v_add_f32_e32 v2, 1.0, v1
	v_rcp_f32_e32 v10, v2
	v_add_f32_e32 v3, -1.0, v2
	v_sub_f32_e32 v5, v1, v3
	v_add_f32_e32 v3, -1.0, v1
	v_mul_f32_e32 v1, v3, v10
	v_mul_f32_e32 v4, v2, v1
	v_fma_f32 v6, v1, v2, -v4
	v_fmac_f32_e32 v6, v1, v5
	v_add_f32_e32 v2, v4, v6
	v_sub_f32_e32 v5, v3, v2
	v_pk_add_f32 v[8:9], v[2:3], v[4:5] neg_lo:[0,1] neg_hi:[0,1]
	v_mov_b32_e32 v7, v2
	v_pk_add_f32 v[2:3], v[8:9], v[6:7] neg_lo:[0,1] neg_hi:[0,1]
	v_mov_b32_e32 v6, 0x3e91f4c4
	v_add_f32_e32 v2, v2, v3
	v_add_f32_e32 v2, v5, v2
	v_mul_f32_e32 v3, v10, v2
	v_add_f32_e32 v2, v1, v3
	v_sub_f32_e32 v1, v2, v1
	v_sub_f32_e32 v1, v3, v1
	v_mul_f32_e32 v3, v2, v2
	v_fma_f32 v5, v2, v2, -v3
	v_add_f32_e32 v4, v1, v1
	v_fmac_f32_e32 v5, v2, v4
	v_add_f32_e32 v4, v3, v5
	v_fmac_f32_e32 v6, 0x3e76c4e1, v4
	v_fmaak_f32 v6, v4, v6, 0x3ecccdef
	v_sub_f32_e32 v3, v4, v3
	v_sub_f32_e32 v12, v5, v3
	v_mul_f32_e32 v3, v4, v6
	v_fma_f32 v5, v4, v6, -v3
	v_fmac_f32_e32 v5, v12, v6
	v_add_f32_e32 v6, v3, v5
	v_add_f32_e32 v7, 0x3f2aaaaa, v6
	v_sub_f32_e32 v3, v6, v3
	v_sub_f32_e32 v3, v5, v3
	v_add_f32_e32 v5, 0xbf2aaaaa, v7
	v_add_f32_e32 v3, 0x31739010, v3
	v_sub_f32_e32 v5, v6, v5
	v_pk_mul_f32 v[8:9], v[2:3], v[4:5]
	v_pk_add_f32 v[10:11], v[2:3], v[4:5]
	v_fma_f32 v6, v4, v2, -v8
	v_fmac_f32_e32 v6, v4, v1
	v_mov_b32_e32 v9, v11
	v_fmac_f32_e32 v6, v12, v2
	v_pk_add_f32 v[4:5], v[8:9], v[6:7]
	v_ldexp_f32 v1, v1, 1
	v_sub_f32_e32 v3, v4, v8
	v_sub_f32_e32 v3, v6, v3
	;; [unrolled: 1-line block ×3, first 2 shown]
	v_add_f32_e32 v9, v11, v6
	v_mov_b32_e32 v6, v5
	v_pk_mul_f32 v[6:7], v[4:5], v[6:7]
	v_cvt_f64_f32_e32 v[10:11], v20
	v_frexp_exp_i32_f64_e32 v7, v[10:11]
	v_subbrev_co_u32_e64 v7, s[4:5], 0, v7, s[4:5]
	v_cvt_f32_i32_e32 v7, v7
	v_fma_f32 v8, v4, v5, -v6
	v_fmac_f32_e32 v8, v4, v9
	s_mov_b32 s4, 0x3f317218
	v_mul_f32_e32 v4, 0x3f317218, v7
	v_fmac_f32_e32 v8, v3, v5
	v_fma_f32 v3, v7, s4, -v4
	v_fmamk_f32 v10, v7, 0xb102e308, v3
	v_ldexp_f32 v11, v2, 1
	v_add_f32_e32 v5, v6, v8
	v_pk_add_f32 v[2:3], v[4:5], v[10:11]
	v_mov_b32_e32 v12, v5
	v_mov_b32_e32 v13, v3
	;; [unrolled: 1-line block ×3, first 2 shown]
	v_pk_add_f32 v[6:7], v[12:13], v[6:7] neg_lo:[0,1] neg_hi:[0,1]
	v_mov_b32_e32 v9, v5
	v_pk_add_f32 v[6:7], v[8:9], v[6:7] neg_lo:[0,1] neg_hi:[0,1]
	v_mov_b32_e32 v11, v2
	v_add_f32_e32 v1, v1, v6
	v_add_f32_e32 v5, v1, v7
	v_pk_add_f32 v[6:7], v[2:3], v[4:5] neg_lo:[0,1] neg_hi:[0,1]
	v_pk_add_f32 v[8:9], v[2:3], v[4:5]
	v_mov_b32_e32 v12, v6
	v_mov_b32_e32 v13, v9
	v_pk_add_f32 v[12:13], v[10:11], v[12:13]
	v_pk_add_f32 v[6:7], v[10:11], v[6:7] neg_lo:[0,1] neg_hi:[0,1]
	v_mov_b32_e32 v4, v13
	v_pk_add_f32 v[14:15], v[4:5], v[2:3] neg_lo:[0,1] neg_hi:[0,1]
	v_mov_b32_e32 v12, v9
	v_mov_b32_e32 v1, v14
	;; [unrolled: 1-line block ×4, first 2 shown]
	v_pk_add_f32 v[16:17], v[8:9], v[0:1] neg_lo:[0,1] neg_hi:[0,1]
	v_pk_add_f32 v[2:3], v[12:13], v[2:3] neg_lo:[0,1] neg_hi:[0,1]
	v_mov_b32_e32 v10, v5
	v_pk_add_f32 v[2:3], v[10:11], v[2:3] neg_lo:[0,1] neg_hi:[0,1]
	v_mov_b32_e32 v16, v6
	v_pk_add_f32 v[8:9], v[16:17], v[2:3]
	v_mov_b32_e32 v7, v13
	v_mov_b32_e32 v10, v9
	v_pk_add_f32 v[10:11], v[8:9], v[10:11]
	s_nop 0
	v_pk_add_f32 v[4:5], v[4:5], v[10:11]
	v_mov_b32_e32 v3, v10
	v_mov_b32_e32 v9, v4
	v_pk_add_f32 v[12:13], v[8:9], v[6:7] neg_lo:[0,1] neg_hi:[0,1]
	s_nop 0
	v_sub_f32_e32 v1, v8, v12
	v_pk_add_f32 v[2:3], v[2:3], v[12:13] neg_lo:[0,1] neg_hi:[0,1]
	v_sub_f32_e32 v1, v6, v1
	v_add_f32_e32 v1, v2, v1
	v_add_f32_e32 v1, v1, v3
	v_add_f32_e32 v2, v4, v1
	v_sub_f32_e32 v3, v2, v4
	v_sub_f32_e32 v1, v1, v3
	v_mul_f32_e32 v3, v19, v2
	v_fma_f32 v2, v19, v2, -v3
	v_fmac_f32_e32 v2, v19, v1
	v_add_f32_e32 v1, v3, v2
	v_cmp_class_f32_e64 s[4:5], v3, s6
	v_sub_f32_e32 v4, v1, v3
	v_sub_f32_e32 v2, v2, v4
	v_cndmask_b32_e64 v1, v1, v3, s[4:5]
	v_mov_b32_e32 v3, 0x37000000
	v_cmp_eq_f32_e64 s[4:5], s8, v1
	s_nop 1
	v_cndmask_b32_e64 v3, 0, v3, s[4:5]
	v_sub_f32_e32 v4, v1, v3
	s_mov_b32 s4, 0x3fb8aa3b
	v_mul_f32_e32 v5, 0x3fb8aa3b, v4
	v_fma_f32 v6, v4, s4, -v5
	v_rndne_f32_e32 v7, v5
	v_fmamk_f32 v6, v4, 0x32a5705f, v6
	v_sub_f32_e32 v5, v5, v7
	v_add_f32_e32 v5, v5, v6
	v_exp_f32_e32 v5, v5
	v_cvt_i32_f32_e32 v6, v7
	v_cmp_neq_f32_e64 s[4:5], |v1|, s7
	s_nop 1
	v_cndmask_b32_e64 v1, 0, v2, s[4:5]
	s_mov_b32 s4, 0xc2ce8ed0
	v_ldexp_f32 v2, v5, v6
	v_cmp_ngt_f32_e64 s[4:5], s4, v4
	v_add_f32_e32 v1, v3, v1
	v_mov_b32_e32 v3, 0x7f800000
	v_cndmask_b32_e64 v2, 0, v2, s[4:5]
	v_cmp_nlt_f32_e64 s[4:5], s8, v4
	v_trunc_f32_e32 v4, v19
	v_mov_b32_e32 v5, 0x7fc00000
	v_cndmask_b32_e64 v2, v3, v2, s[4:5]
	v_fma_f32 v1, v2, v1, v2
	v_cmp_class_f32_e64 s[4:5], v2, s6
	v_cmp_gt_f32_e64 s[8:9], 0, v19
	s_nop 0
	v_cndmask_b32_e64 v1, v1, v2, s[4:5]
	v_cndmask_b32_e64 v2, v18, 1.0, vcc
	v_cmp_eq_f32_e32 vcc, v4, v19
	v_mul_f32_e32 v4, 0.5, v19
	v_trunc_f32_e32 v6, v4
	v_cmp_neq_f32_e64 s[4:5], v6, v4
	s_and_b64 s[4:5], vcc, s[4:5]
	s_nop 0
	v_cndmask_b32_e64 v4, 1.0, v2, s[4:5]
	v_bfi_b32 v1, s13, v1, v4
	v_cndmask_b32_e32 v4, v5, v1, vcc
	v_cmp_gt_f32_e32 vcc, 0, v2
	s_nop 1
	v_cndmask_b32_e32 v1, v1, v4, vcc
	v_cmp_eq_f32_e32 vcc, s7, v20
	v_cmp_eq_f32_e64 s[6:7], 0, v2
	s_xor_b64 s[8:9], s[8:9], s[6:7]
	v_cndmask_b32_e64 v3, v3, 0, s[8:9]
	v_cndmask_b32_e64 v4, 0, v2, s[4:5]
	v_bfi_b32 v3, s13, v3, v4
	s_or_b64 vcc, vcc, s[6:7]
	v_cndmask_b32_e32 v1, v1, v3, vcc
	v_cmp_o_f32_e32 vcc, v2, v2
	s_nop 1
	v_cndmask_b32_e32 v67, v5, v1, vcc
.LBB27_2:
	s_mul_hi_u32 s48, s47, s16
	s_mul_hi_u32 s44, s43, s17
	s_load_dwordx16 s[16:31], s[0:1], 0x0
	v_bfe_u32 v35, v0, 10, 10
	v_and_b32_e32 v64, 0x3ff, v0
	v_cmp_eq_u32_e64 s[14:15], 0, v35
	v_mbcnt_lo_u32_b32 v65, -1, 0
	v_lshlrev_b32_e32 v16, 4, v64
	s_and_saveexec_b64 s[6:7], s[14:15]
	s_cbranch_execz .LBB27_11
; %bb.3:
	s_load_dwordx4 s[52:55], s[0:1], 0x70
	v_mbcnt_hi_u32_b32 v6, -1, v65
	v_and_b32_e32 v4, 0x60, v6
	v_xor_b32_e32 v5, 4, v6
	v_add_u32_e32 v11, 32, v4
	s_waitcnt lgkmcnt(0)
	s_mul_i32 s4, s33, s54
	s_mul_i32 s8, s2, s52
	;; [unrolled: 1-line block ×3, first 2 shown]
	s_add_i32 s4, s4, s8
	s_add_i32 s4, s4, s5
	s_ashr_i32 s5, s4, 31
	s_add_u32 s4, s16, s4
	s_addc_u32 s5, s17, s5
	global_load_dwordx4 v[0:3], v16, s[4:5]
	v_xor_b32_e32 v7, 2, v6
	v_cmp_lt_i32_e32 vcc, v5, v11
	v_xor_b32_e32 v8, 1, v6
	s_mov_b32 s16, 0x42fe0000
	v_cndmask_b32_e32 v4, v6, v5, vcc
	v_cmp_lt_i32_e32 vcc, v7, v11
	v_lshlrev_b32_e32 v5, 2, v4
	v_mov_b32_e32 v9, 0
	v_cndmask_b32_e32 v7, v6, v7, vcc
	v_lshlrev_b32_e32 v4, 2, v7
	v_cmp_lt_i32_e32 vcc, v8, v11
	v_mov_b32_e32 v17, 0
	s_mov_b32 s13, s12
	v_cndmask_b32_e32 v6, v6, v8, vcc
	v_lshlrev_b32_e32 v6, 2, v6
	s_waitcnt vmcnt(0)
	v_mul_f32_e32 v10, s12, v0
	v_mov_b32_e32 v0, v3
	v_pk_mul_f32 v[0:1], v[0:1], s[36:37] op_sel_hi:[1,0]
	v_max_f32_e64 v3, |v10|, |v10|
	v_mul_f32_e32 v7, s12, v2
	v_max_f32_e64 v3, v3, |v1|
	v_max3_f32 v3, v3, |v7|, |v0|
	ds_bpermute_b32 v12, v5, v3
	v_add_f32_e32 v13, v1, v10
	v_fmac_f32_e32 v13, s12, v2
	v_add_f32_e32 v2, v0, v13
	ds_bpermute_b32 v13, v5, v2
	s_waitcnt lgkmcnt(1)
	v_max_f32_e32 v12, v12, v12
	v_max_f32_e32 v3, v3, v12
	ds_bpermute_b32 v12, v4, v3
	s_waitcnt lgkmcnt(1)
	v_add_f32_e32 v2, v2, v13
	ds_bpermute_b32 v8, v4, v2
	s_waitcnt lgkmcnt(1)
	v_max_f32_e32 v11, v12, v12
	v_max_f32_e32 v11, v3, v11
	ds_bpermute_b32 v12, v6, v11
	s_waitcnt lgkmcnt(1)
	v_add_f32_e32 v3, v2, v8
	ds_bpermute_b32 v8, v6, v3
	s_waitcnt lgkmcnt(1)
	v_max_f32_e32 v2, v12, v12
	v_max_f32_e32 v2, v11, v2
	v_div_scale_f32 v11, s[8:9], s16, s16, v2
	v_rcp_f32_e32 v12, v11
	v_div_scale_f32 v13, vcc, v2, s16, v2
	v_fma_f32 v14, -v11, v12, 1.0
	v_fmac_f32_e32 v12, v14, v12
	v_mul_f32_e32 v14, v13, v12
	v_fma_f32 v15, -v11, v14, v13
	v_fmac_f32_e32 v14, v15, v12
	v_fma_f32 v11, -v11, v14, v13
	v_div_fmas_f32 v11, v11, v12, v14
	v_div_fixup_f32 v2, v11, s16, v2
	v_cmp_neq_f32_e32 vcc, 0, v2
	s_and_saveexec_b64 s[8:9], vcc
	s_cbranch_execz .LBB27_5
; %bb.4:
	v_div_scale_f32 v9, s[16:17], v2, v2, v10
	v_rcp_f32_e32 v11, v9
	v_div_scale_f32 v12, vcc, v10, v2, v10
	s_brev_b32 s36, -2
	v_fma_f32 v13, -v9, v11, 1.0
	v_fmac_f32_e32 v11, v13, v11
	v_mul_f32_e32 v13, v12, v11
	v_fma_f32 v14, -v9, v13, v12
	v_fmac_f32_e32 v13, v14, v11
	v_fma_f32 v9, -v9, v13, v12
	v_div_fmas_f32 v9, v9, v11, v13
	v_div_fixup_f32 v9, v9, v2, v10
	v_trunc_f32_e32 v10, v9
	v_sub_f32_e32 v11, v9, v10
	v_cmp_ge_f32_e64 s[16:17], |v11|, 0.5
	s_nop 1
	v_cndmask_b32_e64 v11, 0, 1.0, s[16:17]
	v_div_scale_f32 v12, s[16:17], v2, v2, v0
	v_rcp_f32_e32 v13, v12
	v_bfi_b32 v9, s36, v11, v9
	v_add_f32_e32 v9, v10, v9
	v_cvt_i32_f32_e32 v9, v9
	v_fma_f32 v10, -v12, v13, 1.0
	v_fmac_f32_e32 v13, v10, v13
	v_div_scale_f32 v10, vcc, v0, v2, v0
	v_mul_f32_e32 v11, v10, v13
	v_fma_f32 v14, -v12, v11, v10
	v_fmac_f32_e32 v11, v14, v13
	v_div_scale_f32 v14, s[16:17], v2, v2, v1
	v_rcp_f32_e32 v15, v14
	v_fma_f32 v10, -v12, v11, v10
	v_div_fmas_f32 v10, v10, v13, v11
	v_div_fixup_f32 v0, v10, v2, v0
	v_fma_f32 v11, -v14, v15, 1.0
	v_fmac_f32_e32 v15, v11, v15
	v_div_scale_f32 v11, vcc, v1, v2, v1
	v_mul_f32_e32 v12, v11, v15
	v_fma_f32 v13, -v14, v12, v11
	v_fmac_f32_e32 v12, v13, v15
	v_div_scale_f32 v13, s[16:17], v2, v2, v7
	v_rcp_f32_e32 v18, v13
	v_fma_f32 v11, -v14, v12, v11
	v_div_fmas_f32 v11, v11, v15, v12
	v_div_fixup_f32 v1, v11, v2, v1
	v_fma_f32 v12, -v13, v18, 1.0
	v_fmac_f32_e32 v18, v12, v18
	v_div_scale_f32 v12, vcc, v7, v2, v7
	v_mul_f32_e32 v14, v12, v18
	v_fma_f32 v15, -v13, v14, v12
	v_fmac_f32_e32 v14, v15, v18
	v_fma_f32 v12, -v13, v14, v12
	v_div_fmas_f32 v12, v12, v18, v14
	v_div_fixup_f32 v7, v12, v2, v7
	v_trunc_f32_e32 v12, v7
	v_sub_f32_e32 v13, v7, v12
	v_trunc_f32_e32 v10, v1
	v_cmp_ge_f32_e64 s[16:17], |v13|, 0.5
	v_sub_f32_e32 v11, v1, v10
	s_nop 0
	v_cndmask_b32_e64 v13, 0, 1.0, s[16:17]
	v_cmp_ge_f32_e64 s[16:17], |v11|, 0.5
	v_bfi_b32 v7, s36, v13, v7
	v_add_f32_e32 v7, v12, v7
	v_cndmask_b32_e64 v11, 0, 1.0, s[16:17]
	v_bfi_b32 v1, s36, v11, v1
	v_add_f32_e32 v1, v10, v1
	v_trunc_f32_e32 v10, v0
	v_sub_f32_e32 v11, v0, v10
	v_cmp_ge_f32_e64 s[16:17], |v11|, 0.5
	v_cvt_i32_f32_e32 v7, v7
	v_cvt_i32_f32_e32 v1, v1
	v_cndmask_b32_e64 v11, 0, 1.0, s[16:17]
	v_bfi_b32 v0, s36, v11, v0
	v_add_f32_e32 v0, v10, v0
	v_cvt_i32_f32_e32 v0, v0
	v_and_b32_e32 v7, 0xff, v7
	v_lshlrev_b32_e32 v7, 16, v7
	v_mov_b32_e32 v10, 8
	v_lshlrev_b32_sdwa v1, v10, v1 dst_sel:DWORD dst_unused:UNUSED_PAD src0_sel:DWORD src1_sel:BYTE_0
	v_lshl_or_b32 v0, v0, 24, v7
	v_and_b32_e32 v7, 0xff, v9
	v_or3_b32 v9, v0, v1, v7
.LBB27_5:
	s_or_b64 exec, exec, s[8:9]
	v_and_b32_e32 v10, 7, v64
	v_lshl_add_u64 v[0:1], s[4:5], 0, v[16:17]
	v_lshlrev_b32_e32 v7, 2, v64
	v_cmp_eq_u32_e64 s[4:5], 0, v10
	ds_write_b32 v7, v9
	s_and_saveexec_b64 s[8:9], s[4:5]
	s_cbranch_execz .LBB27_7
; %bb.6:
	s_waitcnt lgkmcnt(1)
	v_add_f32_e32 v3, v3, v8
	ds_write_b64 v64, v[2:3] offset:256
.LBB27_7:
	s_or_b64 exec, exec, s[8:9]
	global_load_dwordx4 v[0:3], v[0:1], off offset:512
	s_waitcnt vmcnt(0)
	v_mul_f32_e32 v9, s12, v0
	v_mov_b32_e32 v0, v3
	v_pk_mul_f32 v[0:1], v[0:1], s[12:13]
	v_max_f32_e64 v3, |v9|, |v9|
	s_waitcnt lgkmcnt(1)
	v_mul_f32_e32 v8, s12, v2
	v_max_f32_e64 v3, v3, |v1|
	v_max3_f32 v3, v3, |v8|, |v0|
	ds_bpermute_b32 v10, v5, v3
	v_add_f32_e32 v11, v1, v9
	v_fmac_f32_e32 v11, s12, v2
	v_add_f32_e32 v2, v0, v11
	ds_bpermute_b32 v5, v5, v2
	s_waitcnt lgkmcnt(1)
	v_max_f32_e32 v10, v10, v10
	v_max_f32_e32 v3, v3, v10
	ds_bpermute_b32 v10, v4, v3
	s_mov_b32 s12, 0x42fe0000
	s_waitcnt lgkmcnt(1)
	v_add_f32_e32 v2, v2, v5
	ds_bpermute_b32 v4, v4, v2
	s_waitcnt lgkmcnt(1)
	v_max_f32_e32 v5, v10, v10
	v_max_f32_e32 v5, v3, v5
	ds_bpermute_b32 v10, v6, v5
	s_waitcnt lgkmcnt(1)
	v_add_f32_e32 v3, v2, v4
	ds_bpermute_b32 v4, v6, v3
	s_waitcnt lgkmcnt(1)
	v_max_f32_e32 v2, v10, v10
	v_max_f32_e32 v2, v5, v2
	v_div_scale_f32 v5, s[8:9], s12, s12, v2
	v_rcp_f32_e32 v10, v5
	v_div_scale_f32 v6, vcc, v2, s12, v2
	v_fma_f32 v11, -v5, v10, 1.0
	v_fmac_f32_e32 v10, v11, v10
	v_mul_f32_e32 v11, v6, v10
	v_fma_f32 v12, -v5, v11, v6
	v_fmac_f32_e32 v11, v12, v10
	v_fma_f32 v5, -v5, v11, v6
	v_div_fmas_f32 v5, v5, v10, v11
	v_div_fixup_f32 v2, v5, s12, v2
	v_cmp_neq_f32_e32 vcc, 0, v2
	v_mov_b32_e32 v5, 0
	s_and_saveexec_b64 s[8:9], vcc
	s_cbranch_execz .LBB27_9
; %bb.8:
	v_div_scale_f32 v5, s[12:13], v2, v2, v9
	v_rcp_f32_e32 v6, v5
	v_div_scale_f32 v10, vcc, v9, v2, v9
	s_brev_b32 s16, -2
	v_fma_f32 v11, -v5, v6, 1.0
	v_fmac_f32_e32 v6, v11, v6
	v_mul_f32_e32 v11, v10, v6
	v_fma_f32 v12, -v5, v11, v10
	v_fmac_f32_e32 v11, v12, v6
	v_fma_f32 v5, -v5, v11, v10
	v_div_fmas_f32 v5, v5, v6, v11
	v_div_fixup_f32 v5, v5, v2, v9
	v_trunc_f32_e32 v6, v5
	v_sub_f32_e32 v9, v5, v6
	v_cmp_ge_f32_e64 s[12:13], |v9|, 0.5
	s_nop 1
	v_cndmask_b32_e64 v9, 0, 1.0, s[12:13]
	v_div_scale_f32 v10, s[12:13], v2, v2, v0
	v_rcp_f32_e32 v11, v10
	v_bfi_b32 v5, s16, v9, v5
	v_add_f32_e32 v5, v6, v5
	v_cvt_i32_f32_e32 v5, v5
	v_fma_f32 v6, -v10, v11, 1.0
	v_fmac_f32_e32 v11, v6, v11
	v_div_scale_f32 v6, vcc, v0, v2, v0
	v_mul_f32_e32 v9, v6, v11
	v_fma_f32 v12, -v10, v9, v6
	v_fmac_f32_e32 v9, v12, v11
	v_div_scale_f32 v12, s[12:13], v2, v2, v1
	v_rcp_f32_e32 v13, v12
	v_fma_f32 v6, -v10, v9, v6
	v_div_fmas_f32 v6, v6, v11, v9
	v_div_fixup_f32 v0, v6, v2, v0
	v_fma_f32 v9, -v12, v13, 1.0
	v_fmac_f32_e32 v13, v9, v13
	v_div_scale_f32 v9, vcc, v1, v2, v1
	v_mul_f32_e32 v10, v9, v13
	v_fma_f32 v11, -v12, v10, v9
	v_fmac_f32_e32 v10, v11, v13
	v_div_scale_f32 v11, s[12:13], v2, v2, v8
	v_rcp_f32_e32 v14, v11
	v_fma_f32 v9, -v12, v10, v9
	v_div_fmas_f32 v9, v9, v13, v10
	v_div_fixup_f32 v1, v9, v2, v1
	v_fma_f32 v10, -v11, v14, 1.0
	v_fmac_f32_e32 v14, v10, v14
	v_div_scale_f32 v10, vcc, v8, v2, v8
	v_mul_f32_e32 v12, v10, v14
	v_fma_f32 v13, -v11, v12, v10
	v_fmac_f32_e32 v12, v13, v14
	v_fma_f32 v10, -v11, v12, v10
	v_div_fmas_f32 v10, v10, v14, v12
	v_div_fixup_f32 v8, v10, v2, v8
	v_trunc_f32_e32 v10, v8
	v_sub_f32_e32 v11, v8, v10
	v_cmp_ge_f32_e64 s[12:13], |v11|, 0.5
	v_and_b32_e32 v5, 0xff, v5
	s_nop 0
	v_cndmask_b32_e64 v11, 0, 1.0, s[12:13]
	v_bfi_b32 v8, s16, v11, v8
	v_add_f32_e32 v8, v10, v8
	v_cvt_i32_f32_e32 v8, v8
	v_and_b32_e32 v6, 0xff, v8
	v_trunc_f32_e32 v8, v1
	v_sub_f32_e32 v9, v1, v8
	v_cmp_ge_f32_e64 s[12:13], |v9|, 0.5
	v_lshlrev_b32_e32 v6, 16, v6
	s_nop 0
	v_cndmask_b32_e64 v9, 0, 1.0, s[12:13]
	v_bfi_b32 v1, s16, v9, v1
	v_add_f32_e32 v1, v8, v1
	v_trunc_f32_e32 v8, v0
	v_sub_f32_e32 v9, v0, v8
	v_cmp_ge_f32_e64 s[12:13], |v9|, 0.5
	v_cvt_i32_f32_e32 v1, v1
	s_nop 0
	v_cndmask_b32_e64 v9, 0, 1.0, s[12:13]
	v_bfi_b32 v0, s16, v9, v0
	v_add_f32_e32 v0, v8, v0
	v_cvt_i32_f32_e32 v0, v0
	v_mov_b32_e32 v8, 8
	v_lshlrev_b32_sdwa v1, v8, v1 dst_sel:DWORD dst_unused:UNUSED_PAD src0_sel:DWORD src1_sel:BYTE_0
	v_lshl_or_b32 v0, v0, 24, v6
	v_or3_b32 v5, v0, v1, v5
.LBB27_9:
	s_or_b64 exec, exec, s[8:9]
	ds_write_b32 v7, v5 offset:128
	s_and_b64 exec, exec, s[4:5]
	s_cbranch_execz .LBB27_11
; %bb.10:
	s_waitcnt lgkmcnt(1)
	v_add_f32_e32 v3, v3, v4
	ds_write_b64 v64, v[2:3] offset:288
.LBB27_11:
	s_or_b64 exec, exec, s[6:7]
	v_and_b32_e32 v38, 3, v64
	v_lshlrev_b32_e32 v17, 2, v38
	v_mov_b32_e32 v69, 0
	s_waitcnt lgkmcnt(0)
	s_barrier
	ds_read2_b32 v[18:19], v17 offset1:4
	ds_read2_b32 v[20:21], v17 offset0:8 offset1:12
	ds_read_b128 v[0:3], v69 offset:256
	ds_read_b128 v[4:7], v69 offset:272
	;; [unrolled: 1-line block ×4, first 2 shown]
	ds_read2_b32 v[22:23], v17 offset0:16 offset1:20
	ds_read2_b32 v[24:25], v17 offset0:24 offset1:28
	;; [unrolled: 1-line block ×6, first 2 shown]
	s_ashr_i32 s41, s40, 31
	s_ashr_i32 s4, s38, 31
	;; [unrolled: 1-line block ×3, first 2 shown]
	s_cmp_eq_u64 s[26:27], 0
	s_waitcnt lgkmcnt(0)
	s_barrier
	s_cbranch_scc1 .LBB27_13
; %bb.12:
	s_load_dword s5, s[0:1], 0xd0
	s_mov_b32 s9, 0
	s_waitcnt lgkmcnt(0)
	s_mul_i32 s5, s5, s33
	s_add_i32 s8, s5, s2
	s_lshl_b64 s[8:9], s[8:9], 2
	s_add_u32 s8, s26, s8
	s_addc_u32 s9, s27, s9
	s_load_dword s42, s[8:9], 0x0
.LBB27_13:
	v_lshlrev_b32_e32 v50, 5, v35
	v_add_u32_e32 v17, v50, v64
	s_lshl_b32 s16, s3, 7
	s_mov_b32 s27, 0
	s_waitcnt lgkmcnt(0)
	s_cmp_ge_i32 s16, s42
	v_mov_b32_e32 v79, 0xfeffffff
	v_mov_b32_e32 v94, 0
	v_lshlrev_b32_e32 v68, 2, v64
	v_lshlrev_b32_e32 v66, 1, v17
	v_mov_b32_e32 v95, 0
	v_mov_b32_e32 v96, 0
	;; [unrolled: 1-line block ×15, first 2 shown]
	s_cbranch_scc1 .LBB27_41
; %bb.14:
	s_load_dwordx4 s[36:39], s[0:1], 0x98
	s_load_dwordx2 s[12:13], s[0:1], 0x8c
	s_xor_b32 s4, s41, s4
	s_mul_i32 s44, s44, s10
	v_mbcnt_hi_u32_b32 v48, -1, v65
	s_waitcnt lgkmcnt(0)
	s_mul_i32 s5, s33, s37
	s_mul_hi_u32 s7, s33, s36
	s_add_i32 s5, s7, s5
	s_mul_i32 s7, s48, s46
	s_mul_i32 s8, s6, s36
	s_sub_i32 s7, s47, s7
	s_add_i32 s5, s5, s8
	s_add_i32 s8, s48, 1
	s_sub_i32 s17, s7, s46
	s_cmp_ge_u32 s7, s46
	s_cselect_b32 s8, s8, s48
	s_cselect_b32 s7, s17, s7
	s_add_i32 s17, s8, 1
	s_cmp_ge_u32 s7, s46
	s_cselect_b32 s7, s17, s8
	s_xor_b32 s7, s7, s4
	s_sub_i32 s7, s7, s4
	s_mul_i32 s4, s7, s13
	s_mul_i32 s9, s33, s36
	s_ashr_i32 s13, s4, 31
	s_add_u32 s17, s18, s9
	s_load_dwordx2 s[8:9], s[0:1], 0xa8
	s_addc_u32 s5, s19, s5
	s_add_u32 s26, s17, s4
	s_addc_u32 s13, s5, s13
	s_mul_i32 s7, s7, s39
	s_waitcnt lgkmcnt(0)
	s_mul_i32 s9, s33, s9
	s_mul_hi_u32 s17, s33, s8
	s_add_i32 s9, s17, s9
	s_mul_i32 s17, s6, s8
	s_add_i32 s9, s9, s17
	s_mul_i32 s8, s33, s8
	s_ashr_i32 s17, s7, 31
	s_add_u32 s8, s20, s8
	s_addc_u32 s9, s21, s9
	s_add_u32 s7, s8, s7
	s_addc_u32 s8, s9, s17
	s_sub_i32 s9, s43, s44
	s_sub_i32 s17, s9, s10
	s_cmp_ge_u32 s9, s10
	s_cselect_b32 s9, s17, s9
	s_sub_i32 s17, s9, s10
	s_load_dwordx2 s[4:5], s[0:1], 0xc8
	s_load_dword s46, s[0:1], 0xd4
	s_cmp_ge_u32 s9, s10
	s_cselect_b32 s9, s17, s9
	s_xor_b32 s9, s9, s6
	s_sub_i32 s6, s9, s6
	s_ashr_i32 s9, s6, 31
	s_waitcnt lgkmcnt(0)
	s_mul_i32 s5, s6, s5
	s_mul_hi_u32 s10, s6, s4
	s_add_i32 s5, s10, s5
	s_mul_i32 s9, s9, s4
	s_add_i32 s5, s5, s9
	s_mul_i32 s6, s6, s4
	s_add_u32 s4, s22, s6
	s_mul_i32 s6, s2, s11
	v_and_b32_e32 v40, 0x7c, v48
	s_addc_u32 s5, s23, s5
	s_ashr_i32 s9, s6, 31
	v_add_u32_e32 v40, 4, v40
	v_xor_b32_e32 v41, 2, v48
	s_add_u32 s6, s4, s6
	s_mov_b32 s17, s27
	v_cmp_lt_i32_e32 vcc, v41, v40
	s_addc_u32 s9, s5, s9
	s_lshl_b64 s[4:5], s[16:17], 1
	v_cndmask_b32_e32 v41, v48, v41, vcc
	s_add_u32 s18, s6, s4
	v_lshlrev_b32_e32 v70, 2, v41
	v_xor_b32_e32 v41, 1, v48
	s_addc_u32 s19, s9, s5
	s_mul_i32 s4, s16, s38
	v_cmp_lt_i32_e32 vcc, v41, v40
	s_add_u32 s20, s7, s4
	s_addc_u32 s21, s8, 0
	v_cndmask_b32_e32 v40, v48, v41, vcc
	s_mul_i32 s4, s16, s12
	v_lshlrev_b32_e32 v71, 2, v40
	v_and_b32_e32 v40, 0x60, v48
	s_add_u32 s36, s26, s4
	v_add_u32_e32 v49, 32, v40
	v_cmp_eq_u32_e64 s[4:5], 3, v38
	v_cmp_eq_u32_e64 s[6:7], 0, v38
	;; [unrolled: 1-line block ×4, first 2 shown]
	v_xor_b32_e32 v38, 4, v48
	v_cmp_lt_i32_e32 vcc, v38, v49
	v_lshrrev_b32_e32 v51, 3, v64
	v_and_b32_e32 v34, 0x7c, v64
	v_cndmask_b32_e32 v38, v48, v38, vcc
	v_lshlrev_b32_e32 v72, 2, v38
	v_xor_b32_e32 v38, 8, v48
	v_cmp_lt_i32_e32 vcc, v38, v49
	v_add_u32_e32 v34, v50, v34
	v_lshlrev_b32_e32 v40, 3, v64
	v_cndmask_b32_e32 v38, v48, v38, vcc
	v_lshlrev_b32_e32 v73, 2, v38
	v_xor_b32_e32 v38, 16, v48
	v_cmp_lt_i32_e32 vcc, v38, v49
	v_add_u32_e32 v62, v51, v50
	v_and_b32_e32 v78, 56, v40
	v_cndmask_b32_e32 v38, v48, v38, vcc
	v_lshlrev_b32_e32 v74, 2, v38
	v_or_b32_e32 v38, v50, v51
	v_lshlrev_b32_e32 v75, 1, v38
	v_mul_lo_u32 v48, v38, s38
	v_or_b32_e32 v38, 16, v38
	v_mul_lo_u32 v40, v34, s12
	v_mul_lo_u32 v56, v38, s38
	v_add_u32_e32 v38, 20, v62
	s_addc_u32 s37, s13, 0
	v_add_u32_e32 v42, s12, v40
	v_mul_lo_u32 v58, v38, s38
	v_add_u32_e32 v38, 24, v62
	s_cmp_lg_u64 s[22:23], 0
	v_add_u32_e32 v44, s12, v42
	v_add_u32_e32 v50, 4, v62
	;; [unrolled: 1-line block ×4, first 2 shown]
	v_mul_lo_u32 v60, v38, s38
	v_add_u32_e32 v38, 28, v62
	v_mov_b32_e32 v39, 0
	s_cselect_b64 s[22:23], -1, 0
	s_lshl_b32 s26, s46, 7
	v_add_u32_e32 v46, s12, v44
	v_mul_lo_u32 v50, v50, s38
	v_mul_lo_u32 v52, v52, s38
	;; [unrolled: 1-line block ×4, first 2 shown]
                                        ; implicit-def: $vgpr38
                                        ; implicit-def: $vgpr38
	;; [unrolled: 1-line block ×3, first 2 shown]
	v_and_b32_e32 v36, 12, v68
	v_mov_b32_e32 v37, v39
	s_mul_i32 s17, s26, s12
	s_mul_i32 s43, s26, s38
	v_ashrrev_i32_e32 v41, 31, v40
	v_ashrrev_i32_e32 v43, 31, v42
	;; [unrolled: 1-line block ×12, first 2 shown]
	v_mov_b32_e32 v80, 0xfeffffff
	s_mov_b32 s44, 0x3f200000
	s_mov_b32 s46, 0x3fb8aa3b
	;; [unrolled: 1-line block ×4, first 2 shown]
	v_mov_b32_e32 v76, 0x3ca908c9
	s_brev_b32 s49, -2
	v_lshlrev_b32_e32 v38, 1, v78
	v_mov_b32_e32 v77, 0x7f800000
	v_mov_b32_e32 v93, v39
	v_mov_b32_e32 v92, v39
	v_mov_b32_e32 v91, v39
	v_mov_b32_e32 v90, v39
	v_mov_b32_e32 v89, v39
	v_mov_b32_e32 v87, v39
	v_mov_b32_e32 v86, v39
	v_mov_b32_e32 v85, v39
	v_mov_b32_e32 v84, v39
	v_mov_b32_e32 v83, v39
	v_mov_b32_e32 v82, v39
	v_mov_b32_e32 v81, v39
	v_mov_b32_e32 v97, v39
	v_mov_b32_e32 v96, v39
	v_mov_b32_e32 v95, v39
	v_mov_b32_e32 v94, v39
	v_mov_b32_e32 v69, v39
                                        ; implicit-def: $vgpr78
.LBB27_15:                              ; =>This Inner Loop Header: Depth=1
	v_lshl_add_u64 v[98:99], s[36:37], 0, v[40:41]
	v_lshl_add_u64 v[100:101], v[98:99], 0, v[36:37]
	global_load_dword v79, v[100:101], off offset:2
	v_mov_b32_e32 v102, 0
	v_mov_b32_e32 v103, 0
	s_waitcnt vmcnt(0)
	v_and_b32_e32 v88, 0xf0f0f0f, v79
	v_dot4c_i32_i8_e32 v102, v88, v18
	global_load_ushort v88, v[98:99], off
	v_lshrrev_b32_e32 v79, 4, v79
	v_and_b32_e32 v79, 0xf0f0f0f, v79
	v_cvt_f32_i32_e32 v102, v102
	v_dot4c_i32_i8_e32 v103, v79, v19
	v_fma_f32 v102, v0, v102, -v1
	s_nop 1
	v_cvt_f32_i32_e32 v79, v103
	v_mov_b32_e32 v103, 0
	v_fma_f32 v79, v0, v79, -v1
	s_waitcnt vmcnt(0)
	v_fma_mix_f32 v102, v102, v88, 0 op_sel_hi:[0,1,0]
	v_fma_mix_f32 v79, v79, v88, v102 op_sel_hi:[0,1,0]
	global_load_dword v88, v[100:101], off offset:20
	s_waitcnt vmcnt(0)
	v_and_b32_e32 v102, 0xf0f0f0f, v88
	v_dot4c_i32_i8_e32 v103, v102, v20
	global_load_ushort v102, v[98:99], off offset:18
	v_lshrrev_b32_e32 v88, 4, v88
	v_and_b32_e32 v88, 0xf0f0f0f, v88
	v_cvt_f32_i32_e32 v103, v103
	v_fma_f32 v103, v2, v103, -v3
	s_waitcnt vmcnt(0)
	v_fma_mix_f32 v79, v103, v102, v79 op_sel_hi:[0,1,0]
	v_mov_b32_e32 v103, 0
	v_dot4c_i32_i8_e32 v103, v88, v21
	s_nop 2
	v_cvt_f32_i32_e32 v88, v103
	v_mov_b32_e32 v103, 0
	v_fma_f32 v88, v2, v88, -v3
	v_fma_mix_f32 v79, v88, v102, v79 op_sel_hi:[0,1,0]
	global_load_dword v88, v[100:101], off offset:38
	s_waitcnt vmcnt(0)
	v_and_b32_e32 v102, 0xf0f0f0f, v88
	v_dot4c_i32_i8_e32 v103, v102, v22
	global_load_ushort v102, v[98:99], off offset:36
	v_lshrrev_b32_e32 v88, 4, v88
	v_and_b32_e32 v88, 0xf0f0f0f, v88
	v_cvt_f32_i32_e32 v103, v103
	v_fma_f32 v103, v4, v103, -v5
	s_waitcnt vmcnt(0)
	v_fma_mix_f32 v79, v103, v102, v79 op_sel_hi:[0,1,0]
	v_mov_b32_e32 v103, 0
	v_dot4c_i32_i8_e32 v103, v88, v23
	s_nop 2
	v_cvt_f32_i32_e32 v88, v103
	v_mov_b32_e32 v103, 0
	v_fma_f32 v88, v4, v88, -v5
	;; [unrolled: 18-line block ×5, first 2 shown]
	v_fma_mix_f32 v79, v88, v102, v79 op_sel_hi:[0,1,0]
	global_load_dword v88, v[100:101], off offset:110
	s_waitcnt vmcnt(0)
	v_and_b32_e32 v102, 0xf0f0f0f, v88
	v_dot4c_i32_i8_e32 v103, v102, v30
	global_load_ushort v102, v[98:99], off offset:108
	v_lshrrev_b32_e32 v88, 4, v88
	v_and_b32_e32 v88, 0xf0f0f0f, v88
	v_cvt_f32_i32_e32 v103, v103
	global_load_ushort v98, v[98:99], off offset:126
	v_fma_f32 v103, v12, v103, -v13
	s_waitcnt vmcnt(1)
	v_fma_mix_f32 v79, v103, v102, v79 op_sel_hi:[0,1,0]
	v_mov_b32_e32 v103, 0
	v_dot4c_i32_i8_e32 v103, v88, v31
	s_nop 2
	v_cvt_f32_i32_e32 v88, v103
	v_fma_f32 v88, v12, v88, -v13
	v_fma_mix_f32 v79, v88, v102, v79 op_sel_hi:[0,1,0]
	global_load_dword v88, v[100:101], off offset:128
	v_mov_b32_e32 v101, 0
	s_waitcnt vmcnt(0)
	v_and_b32_e32 v100, 0xf0f0f0f, v88
	v_dot4c_i32_i8_e32 v101, v100, v32
	v_lshrrev_b32_e32 v88, 4, v88
	v_and_b32_e32 v88, 0xf0f0f0f, v88
	s_nop 0
	v_cvt_f32_i32_e32 v99, v101
	v_fma_f32 v99, v14, v99, -v15
	v_fma_mix_f32 v79, v99, v98, v79 op_sel_hi:[0,1,0]
	v_mov_b32_e32 v99, 0
	v_dot4c_i32_i8_e32 v99, v88, v33
	s_nop 2
	v_cvt_f32_i32_e32 v88, v99
	v_fma_f32 v88, v14, v88, -v15
	v_fma_mix_f32 v79, v88, v98, v79 op_sel_hi:[0,1,0]
	ds_bpermute_b32 v88, v70, v79
	s_waitcnt lgkmcnt(0)
	v_add_f32_e32 v79, v79, v88
	ds_bpermute_b32 v88, v71, v79
	s_waitcnt lgkmcnt(0)
	v_add_f32_e32 v79, v79, v88
	v_cmp_nlt_f32_e64 s[12:13], |v79|, s44
                                        ; implicit-def: $vgpr88
	s_and_saveexec_b64 s[38:39], s[12:13]
	s_xor_b64 s[12:13], exec, s[38:39]
	s_cbranch_execz .LBB27_17
; %bb.16:                               ;   in Loop: Header=BB27_15 Depth=1
	v_add_f32_e64 v88, |v79|, |v79|
	v_mul_f32_e32 v98, 0x3fb8aa3b, v88
	v_rndne_f32_e32 v99, v98
	v_sub_f32_e32 v100, v98, v99
	v_fma_f32 v98, v88, s46, -v98
	v_fmac_f32_e32 v98, 0x32a5705f, v88
	v_add_f32_e32 v98, v100, v98
	v_cvt_i32_f32_e32 v99, v99
	v_exp_f32_e32 v98, v98
	v_cmp_ngt_f32_e32 vcc, s47, v88
	v_ldexp_f32 v98, v98, v99
	s_nop 0
	v_cndmask_b32_e32 v98, 0, v98, vcc
	v_cmp_nlt_f32_e32 vcc, s48, v88
	s_nop 1
	v_cndmask_b32_e32 v88, v77, v98, vcc
	v_add_f32_e32 v88, 1.0, v88
	v_rcp_f32_e32 v88, v88
	s_nop 0
	v_fma_f32 v88, v88, -2.0, 1.0
.LBB27_17:                              ;   in Loop: Header=BB27_15 Depth=1
	s_andn2_saveexec_b64 s[12:13], s[12:13]
; %bb.18:                               ;   in Loop: Header=BB27_15 Depth=1
	v_mul_f32_e32 v88, v79, v79
	v_fmamk_f32 v98, v88, 0xbbbac73d, v76
	v_fmaak_f32 v98, v88, v98, 0xbd5c1c4e
	v_fmaak_f32 v98, v88, v98, 0x3e088382
	;; [unrolled: 1-line block ×3, first 2 shown]
	v_mul_f32_e64 v98, |v79|, v98
	v_fma_f32 v88, v88, v98, |v79|
; %bb.19:                               ;   in Loop: Header=BB27_15 Depth=1
	s_or_b64 exec, exec, s[12:13]
	v_bfi_b32 v79, s49, v88, v79
	v_cndmask_b32_e64 v88, 0, 1, s[22:23]
	v_mul_f32_e32 v79, s45, v79
	v_cmp_ne_u32_e64 s[12:13], 1, v88
	s_andn2_b64 vcc, exec, s[22:23]
	v_lshlrev_b32_e32 v88, 1, v34
	s_cbranch_vccnz .LBB27_21
; %bb.20:                               ;   in Loop: Header=BB27_15 Depth=1
	global_load_ushort v98, v88, s[18:19]
	s_waitcnt vmcnt(0)
	v_fma_mix_f32 v79, v67, v98, v79 op_sel_hi:[0,1,0]
.LBB27_21:                              ;   in Loop: Header=BB27_15 Depth=1
	v_lshl_add_u64 v[98:99], s[36:37], 0, v[42:43]
	v_lshl_add_u64 v[100:101], v[98:99], 0, v[36:37]
	global_load_dword v102, v[100:101], off offset:2
	v_mov_b32_e32 v104, 0
	v_mov_b32_e32 v105, 0
	s_waitcnt vmcnt(0)
	v_and_b32_e32 v103, 0xf0f0f0f, v102
	v_dot4c_i32_i8_e32 v104, v103, v18
	global_load_ushort v103, v[98:99], off
	v_lshrrev_b32_e32 v102, 4, v102
	v_and_b32_e32 v102, 0xf0f0f0f, v102
	v_cvt_f32_i32_e32 v104, v104
	v_dot4c_i32_i8_e32 v105, v102, v19
	v_fma_f32 v104, v0, v104, -v1
	s_nop 1
	v_cvt_f32_i32_e32 v102, v105
	v_mov_b32_e32 v105, 0
	v_fma_f32 v102, v0, v102, -v1
	s_waitcnt vmcnt(0)
	v_fma_mix_f32 v104, v104, v103, 0 op_sel_hi:[0,1,0]
	v_fma_mix_f32 v102, v102, v103, v104 op_sel_hi:[0,1,0]
	global_load_dword v103, v[100:101], off offset:20
	s_waitcnt vmcnt(0)
	v_and_b32_e32 v104, 0xf0f0f0f, v103
	v_dot4c_i32_i8_e32 v105, v104, v20
	global_load_ushort v104, v[98:99], off offset:18
	v_lshrrev_b32_e32 v103, 4, v103
	v_and_b32_e32 v103, 0xf0f0f0f, v103
	v_cvt_f32_i32_e32 v105, v105
	v_fma_f32 v105, v2, v105, -v3
	s_waitcnt vmcnt(0)
	v_fma_mix_f32 v102, v105, v104, v102 op_sel_hi:[0,1,0]
	v_mov_b32_e32 v105, 0
	v_dot4c_i32_i8_e32 v105, v103, v21
	s_nop 2
	v_cvt_f32_i32_e32 v103, v105
	v_mov_b32_e32 v105, 0
	v_fma_f32 v103, v2, v103, -v3
	v_fma_mix_f32 v102, v103, v104, v102 op_sel_hi:[0,1,0]
	global_load_dword v103, v[100:101], off offset:38
	s_waitcnt vmcnt(0)
	v_and_b32_e32 v104, 0xf0f0f0f, v103
	v_dot4c_i32_i8_e32 v105, v104, v22
	global_load_ushort v104, v[98:99], off offset:36
	v_lshrrev_b32_e32 v103, 4, v103
	v_and_b32_e32 v103, 0xf0f0f0f, v103
	v_cvt_f32_i32_e32 v105, v105
	v_fma_f32 v105, v4, v105, -v5
	s_waitcnt vmcnt(0)
	v_fma_mix_f32 v102, v105, v104, v102 op_sel_hi:[0,1,0]
	v_mov_b32_e32 v105, 0
	v_dot4c_i32_i8_e32 v105, v103, v23
	s_nop 2
	v_cvt_f32_i32_e32 v103, v105
	v_mov_b32_e32 v105, 0
	v_fma_f32 v103, v4, v103, -v5
	;; [unrolled: 18-line block ×5, first 2 shown]
	v_fma_mix_f32 v102, v103, v104, v102 op_sel_hi:[0,1,0]
	global_load_dword v103, v[100:101], off offset:110
	s_waitcnt vmcnt(0)
	v_and_b32_e32 v104, 0xf0f0f0f, v103
	v_dot4c_i32_i8_e32 v105, v104, v30
	global_load_ushort v104, v[98:99], off offset:108
	v_lshrrev_b32_e32 v103, 4, v103
	global_load_dword v100, v[100:101], off offset:128
	v_cvt_f32_i32_e32 v105, v105
	global_load_ushort v98, v[98:99], off offset:126
	v_and_b32_e32 v103, 0xf0f0f0f, v103
	v_fma_f32 v105, v12, v105, -v13
	s_waitcnt vmcnt(2)
	v_fma_mix_f32 v102, v105, v104, v102 op_sel_hi:[0,1,0]
	v_mov_b32_e32 v105, 0
	v_dot4c_i32_i8_e32 v105, v103, v31
	s_waitcnt vmcnt(1)
	v_and_b32_e32 v101, 0xf0f0f0f, v100
	v_lshrrev_b32_e32 v100, 4, v100
	v_and_b32_e32 v100, 0xf0f0f0f, v100
	v_cvt_f32_i32_e32 v103, v105
	v_fma_f32 v103, v12, v103, -v13
	v_fma_mix_f32 v102, v103, v104, v102 op_sel_hi:[0,1,0]
	v_mov_b32_e32 v103, 0
	v_dot4c_i32_i8_e32 v103, v101, v32
	v_mov_b32_e32 v101, 0
	v_dot4c_i32_i8_e32 v101, v100, v33
	s_nop 0
	v_cvt_f32_i32_e32 v99, v103
	v_fma_f32 v99, v14, v99, -v15
	v_cvt_f32_i32_e32 v100, v101
	s_waitcnt vmcnt(0)
	v_fma_mix_f32 v99, v99, v98, v102 op_sel_hi:[0,1,0]
	v_fma_f32 v100, v14, v100, -v15
	v_fma_mix_f32 v98, v100, v98, v99 op_sel_hi:[0,1,0]
	ds_bpermute_b32 v99, v70, v98
	s_waitcnt lgkmcnt(0)
	v_add_f32_e32 v98, v98, v99
	ds_bpermute_b32 v99, v71, v98
	s_waitcnt lgkmcnt(0)
	v_add_f32_e32 v98, v98, v99
	v_cmp_nlt_f32_e64 s[38:39], |v98|, s44
                                        ; implicit-def: $vgpr99
	s_and_saveexec_b64 s[50:51], s[38:39]
	s_xor_b64 s[38:39], exec, s[50:51]
	s_cbranch_execz .LBB27_23
; %bb.22:                               ;   in Loop: Header=BB27_15 Depth=1
	v_add_f32_e64 v99, |v98|, |v98|
	v_mul_f32_e32 v100, 0x3fb8aa3b, v99
	v_rndne_f32_e32 v101, v100
	v_sub_f32_e32 v102, v100, v101
	v_fma_f32 v100, v99, s46, -v100
	v_fmac_f32_e32 v100, 0x32a5705f, v99
	v_add_f32_e32 v100, v102, v100
	v_cvt_i32_f32_e32 v101, v101
	v_exp_f32_e32 v100, v100
	v_cmp_ngt_f32_e32 vcc, s47, v99
	v_ldexp_f32 v100, v100, v101
	s_nop 0
	v_cndmask_b32_e32 v100, 0, v100, vcc
	v_cmp_nlt_f32_e32 vcc, s48, v99
	s_nop 1
	v_cndmask_b32_e32 v99, v77, v100, vcc
	v_add_f32_e32 v99, 1.0, v99
	v_rcp_f32_e32 v99, v99
	s_nop 0
	v_fma_f32 v99, v99, -2.0, 1.0
.LBB27_23:                              ;   in Loop: Header=BB27_15 Depth=1
	s_andn2_saveexec_b64 s[38:39], s[38:39]
; %bb.24:                               ;   in Loop: Header=BB27_15 Depth=1
	v_mul_f32_e32 v99, v98, v98
	v_fmamk_f32 v100, v99, 0xbbbac73d, v76
	v_fmaak_f32 v100, v99, v100, 0xbd5c1c4e
	v_fmaak_f32 v100, v99, v100, 0x3e088382
	;; [unrolled: 1-line block ×3, first 2 shown]
	v_mul_f32_e64 v100, |v98|, v100
	v_fma_f32 v99, v99, v100, |v98|
; %bb.25:                               ;   in Loop: Header=BB27_15 Depth=1
	s_or_b64 exec, exec, s[38:39]
	v_bfi_b32 v98, s49, v99, v98
	s_and_b64 vcc, exec, s[12:13]
	v_mul_f32_e32 v98, s45, v98
	s_cbranch_vccnz .LBB27_27
; %bb.26:                               ;   in Loop: Header=BB27_15 Depth=1
	global_load_ushort v99, v88, s[18:19] offset:2
	s_waitcnt vmcnt(0)
	v_fma_mix_f32 v98, v67, v99, v98 op_sel_hi:[0,1,0]
.LBB27_27:                              ;   in Loop: Header=BB27_15 Depth=1
	v_lshl_add_u64 v[100:101], s[36:37], 0, v[44:45]
	v_lshl_add_u64 v[102:103], v[100:101], 0, v[36:37]
	global_load_dword v99, v[102:103], off offset:2
	v_mov_b32_e32 v105, 0
	v_mov_b32_e32 v106, 0
	s_waitcnt vmcnt(0)
	v_and_b32_e32 v104, 0xf0f0f0f, v99
	v_dot4c_i32_i8_e32 v105, v104, v18
	global_load_ushort v104, v[100:101], off
	v_lshrrev_b32_e32 v99, 4, v99
	v_and_b32_e32 v99, 0xf0f0f0f, v99
	v_cvt_f32_i32_e32 v105, v105
	v_dot4c_i32_i8_e32 v106, v99, v19
	v_fma_f32 v105, v0, v105, -v1
	s_nop 1
	v_cvt_f32_i32_e32 v99, v106
	v_mov_b32_e32 v106, 0
	v_fma_f32 v99, v0, v99, -v1
	s_waitcnt vmcnt(0)
	v_fma_mix_f32 v105, v105, v104, 0 op_sel_hi:[0,1,0]
	v_fma_mix_f32 v99, v99, v104, v105 op_sel_hi:[0,1,0]
	global_load_dword v104, v[102:103], off offset:20
	s_waitcnt vmcnt(0)
	v_and_b32_e32 v105, 0xf0f0f0f, v104
	v_dot4c_i32_i8_e32 v106, v105, v20
	global_load_ushort v105, v[100:101], off offset:18
	v_lshrrev_b32_e32 v104, 4, v104
	v_and_b32_e32 v104, 0xf0f0f0f, v104
	v_cvt_f32_i32_e32 v106, v106
	v_fma_f32 v106, v2, v106, -v3
	s_waitcnt vmcnt(0)
	v_fma_mix_f32 v99, v106, v105, v99 op_sel_hi:[0,1,0]
	v_mov_b32_e32 v106, 0
	v_dot4c_i32_i8_e32 v106, v104, v21
	s_nop 2
	v_cvt_f32_i32_e32 v104, v106
	v_mov_b32_e32 v106, 0
	v_fma_f32 v104, v2, v104, -v3
	v_fma_mix_f32 v99, v104, v105, v99 op_sel_hi:[0,1,0]
	global_load_dword v104, v[102:103], off offset:38
	s_waitcnt vmcnt(0)
	v_and_b32_e32 v105, 0xf0f0f0f, v104
	v_dot4c_i32_i8_e32 v106, v105, v22
	global_load_ushort v105, v[100:101], off offset:36
	v_lshrrev_b32_e32 v104, 4, v104
	v_and_b32_e32 v104, 0xf0f0f0f, v104
	v_cvt_f32_i32_e32 v106, v106
	v_fma_f32 v106, v4, v106, -v5
	s_waitcnt vmcnt(0)
	v_fma_mix_f32 v99, v106, v105, v99 op_sel_hi:[0,1,0]
	v_mov_b32_e32 v106, 0
	v_dot4c_i32_i8_e32 v106, v104, v23
	s_nop 2
	v_cvt_f32_i32_e32 v104, v106
	v_mov_b32_e32 v106, 0
	v_fma_f32 v104, v4, v104, -v5
	;; [unrolled: 18-line block ×5, first 2 shown]
	v_fma_mix_f32 v99, v104, v105, v99 op_sel_hi:[0,1,0]
	global_load_dword v104, v[102:103], off offset:110
	s_waitcnt vmcnt(0)
	v_and_b32_e32 v105, 0xf0f0f0f, v104
	v_dot4c_i32_i8_e32 v106, v105, v30
	global_load_ushort v105, v[100:101], off offset:108
	v_lshrrev_b32_e32 v104, 4, v104
	global_load_dword v102, v[102:103], off offset:128
	v_cvt_f32_i32_e32 v106, v106
	global_load_ushort v100, v[100:101], off offset:126
	v_and_b32_e32 v104, 0xf0f0f0f, v104
	v_fma_f32 v106, v12, v106, -v13
	s_waitcnt vmcnt(2)
	v_fma_mix_f32 v99, v106, v105, v99 op_sel_hi:[0,1,0]
	v_mov_b32_e32 v106, 0
	v_dot4c_i32_i8_e32 v106, v104, v31
	s_waitcnt vmcnt(1)
	v_and_b32_e32 v103, 0xf0f0f0f, v102
	s_nop 0
	v_cvt_f32_i32_e32 v104, v106
	v_fma_f32 v104, v12, v104, -v13
	v_fma_mix_f32 v99, v104, v105, v99 op_sel_hi:[0,1,0]
	v_mov_b32_e32 v104, 0
	v_dot4c_i32_i8_e32 v104, v103, v32
	s_nop 2
	v_cvt_f32_i32_e32 v101, v104
	v_fma_f32 v101, v14, v101, -v15
	s_waitcnt vmcnt(0)
	v_fma_mix_f32 v99, v101, v100, v99 op_sel_hi:[0,1,0]
	v_lshrrev_b32_e32 v101, 4, v102
	v_and_b32_e32 v101, 0xf0f0f0f, v101
	v_mov_b32_e32 v102, 0
	v_dot4c_i32_i8_e32 v102, v101, v33
	s_nop 2
	v_cvt_f32_i32_e32 v101, v102
	v_fma_f32 v101, v14, v101, -v15
	v_fma_mix_f32 v99, v101, v100, v99 op_sel_hi:[0,1,0]
	ds_bpermute_b32 v100, v70, v99
	s_waitcnt lgkmcnt(0)
	v_add_f32_e32 v99, v99, v100
	ds_bpermute_b32 v100, v71, v99
	s_waitcnt lgkmcnt(0)
	v_add_f32_e32 v99, v99, v100
	v_cmp_nlt_f32_e64 s[38:39], |v99|, s44
                                        ; implicit-def: $vgpr100
	s_and_saveexec_b64 s[50:51], s[38:39]
	s_xor_b64 s[38:39], exec, s[50:51]
	s_cbranch_execz .LBB27_29
; %bb.28:                               ;   in Loop: Header=BB27_15 Depth=1
	v_add_f32_e64 v100, |v99|, |v99|
	v_mul_f32_e32 v101, 0x3fb8aa3b, v100
	v_rndne_f32_e32 v102, v101
	v_sub_f32_e32 v103, v101, v102
	v_fma_f32 v101, v100, s46, -v101
	v_fmac_f32_e32 v101, 0x32a5705f, v100
	v_add_f32_e32 v101, v103, v101
	v_cvt_i32_f32_e32 v102, v102
	v_exp_f32_e32 v101, v101
	v_cmp_ngt_f32_e32 vcc, s47, v100
	v_ldexp_f32 v101, v101, v102
	s_nop 0
	v_cndmask_b32_e32 v101, 0, v101, vcc
	v_cmp_nlt_f32_e32 vcc, s48, v100
	s_nop 1
	v_cndmask_b32_e32 v100, v77, v101, vcc
	v_add_f32_e32 v100, 1.0, v100
	v_rcp_f32_e32 v100, v100
	s_nop 0
	v_fma_f32 v100, v100, -2.0, 1.0
.LBB27_29:                              ;   in Loop: Header=BB27_15 Depth=1
	s_andn2_saveexec_b64 s[38:39], s[38:39]
; %bb.30:                               ;   in Loop: Header=BB27_15 Depth=1
	v_mul_f32_e32 v100, v99, v99
	v_fmamk_f32 v101, v100, 0xbbbac73d, v76
	v_fmaak_f32 v101, v100, v101, 0xbd5c1c4e
	v_fmaak_f32 v101, v100, v101, 0x3e088382
	;; [unrolled: 1-line block ×3, first 2 shown]
	v_mul_f32_e64 v101, |v99|, v101
	v_fma_f32 v100, v100, v101, |v99|
; %bb.31:                               ;   in Loop: Header=BB27_15 Depth=1
	s_or_b64 exec, exec, s[38:39]
	v_bfi_b32 v99, s49, v100, v99
	s_and_b64 vcc, exec, s[12:13]
	v_mul_f32_e32 v99, s45, v99
	s_cbranch_vccnz .LBB27_33
; %bb.32:                               ;   in Loop: Header=BB27_15 Depth=1
	global_load_ushort v100, v88, s[18:19] offset:4
	s_waitcnt vmcnt(0)
	v_fma_mix_f32 v99, v67, v100, v99 op_sel_hi:[0,1,0]
.LBB27_33:                              ;   in Loop: Header=BB27_15 Depth=1
	v_lshl_add_u64 v[100:101], s[36:37], 0, v[46:47]
	v_lshl_add_u64 v[102:103], v[100:101], 0, v[36:37]
	global_load_dword v104, v[102:103], off offset:2
	v_mov_b32_e32 v106, 0
	v_mov_b32_e32 v107, 0
	s_waitcnt vmcnt(0)
	v_and_b32_e32 v105, 0xf0f0f0f, v104
	v_dot4c_i32_i8_e32 v106, v105, v18
	global_load_ushort v105, v[100:101], off
	v_lshrrev_b32_e32 v104, 4, v104
	v_and_b32_e32 v104, 0xf0f0f0f, v104
	v_cvt_f32_i32_e32 v106, v106
	v_dot4c_i32_i8_e32 v107, v104, v19
	v_fma_f32 v106, v0, v106, -v1
	s_nop 1
	v_cvt_f32_i32_e32 v104, v107
	v_mov_b32_e32 v107, 0
	v_fma_f32 v104, v0, v104, -v1
	s_waitcnt vmcnt(0)
	v_fma_mix_f32 v106, v106, v105, 0 op_sel_hi:[0,1,0]
	v_fma_mix_f32 v104, v104, v105, v106 op_sel_hi:[0,1,0]
	global_load_dword v105, v[102:103], off offset:20
	s_waitcnt vmcnt(0)
	v_and_b32_e32 v106, 0xf0f0f0f, v105
	v_dot4c_i32_i8_e32 v107, v106, v20
	global_load_ushort v106, v[100:101], off offset:18
	v_lshrrev_b32_e32 v105, 4, v105
	v_and_b32_e32 v105, 0xf0f0f0f, v105
	v_cvt_f32_i32_e32 v107, v107
	v_fma_f32 v107, v2, v107, -v3
	s_waitcnt vmcnt(0)
	v_fma_mix_f32 v104, v107, v106, v104 op_sel_hi:[0,1,0]
	v_mov_b32_e32 v107, 0
	v_dot4c_i32_i8_e32 v107, v105, v21
	s_nop 2
	v_cvt_f32_i32_e32 v105, v107
	v_mov_b32_e32 v107, 0
	v_fma_f32 v105, v2, v105, -v3
	v_fma_mix_f32 v104, v105, v106, v104 op_sel_hi:[0,1,0]
	global_load_dword v105, v[102:103], off offset:38
	s_waitcnt vmcnt(0)
	v_and_b32_e32 v106, 0xf0f0f0f, v105
	v_dot4c_i32_i8_e32 v107, v106, v22
	global_load_ushort v106, v[100:101], off offset:36
	v_lshrrev_b32_e32 v105, 4, v105
	v_and_b32_e32 v105, 0xf0f0f0f, v105
	v_cvt_f32_i32_e32 v107, v107
	v_fma_f32 v107, v4, v107, -v5
	s_waitcnt vmcnt(0)
	v_fma_mix_f32 v104, v107, v106, v104 op_sel_hi:[0,1,0]
	v_mov_b32_e32 v107, 0
	v_dot4c_i32_i8_e32 v107, v105, v23
	s_nop 2
	v_cvt_f32_i32_e32 v105, v107
	v_mov_b32_e32 v107, 0
	v_fma_f32 v105, v4, v105, -v5
	;; [unrolled: 18-line block ×5, first 2 shown]
	v_fma_mix_f32 v104, v105, v106, v104 op_sel_hi:[0,1,0]
	global_load_dword v105, v[102:103], off offset:110
	s_waitcnt vmcnt(0)
	v_and_b32_e32 v106, 0xf0f0f0f, v105
	v_dot4c_i32_i8_e32 v107, v106, v30
	global_load_ushort v106, v[100:101], off offset:108
	v_lshrrev_b32_e32 v105, 4, v105
	global_load_dword v102, v[102:103], off offset:128
	v_cvt_f32_i32_e32 v107, v107
	global_load_ushort v100, v[100:101], off offset:126
	v_and_b32_e32 v105, 0xf0f0f0f, v105
	v_fma_f32 v107, v12, v107, -v13
	s_waitcnt vmcnt(2)
	v_fma_mix_f32 v104, v107, v106, v104 op_sel_hi:[0,1,0]
	v_mov_b32_e32 v107, 0
	v_dot4c_i32_i8_e32 v107, v105, v31
	s_waitcnt vmcnt(1)
	v_and_b32_e32 v103, 0xf0f0f0f, v102
	v_lshrrev_b32_e32 v102, 4, v102
	v_and_b32_e32 v102, 0xf0f0f0f, v102
	v_cvt_f32_i32_e32 v105, v107
	v_fma_f32 v105, v12, v105, -v13
	v_fma_mix_f32 v104, v105, v106, v104 op_sel_hi:[0,1,0]
	v_mov_b32_e32 v105, 0
	v_dot4c_i32_i8_e32 v105, v103, v32
	v_mov_b32_e32 v103, 0
	v_dot4c_i32_i8_e32 v103, v102, v33
	s_nop 0
	v_cvt_f32_i32_e32 v101, v105
	v_fma_f32 v101, v14, v101, -v15
	v_cvt_f32_i32_e32 v102, v103
	s_waitcnt vmcnt(0)
	v_fma_mix_f32 v101, v101, v100, v104 op_sel_hi:[0,1,0]
	v_fma_f32 v102, v14, v102, -v15
	v_fma_mix_f32 v100, v102, v100, v101 op_sel_hi:[0,1,0]
	ds_bpermute_b32 v101, v70, v100
	s_waitcnt lgkmcnt(0)
	v_add_f32_e32 v100, v100, v101
	ds_bpermute_b32 v101, v71, v100
	s_waitcnt lgkmcnt(0)
	v_add_f32_e32 v100, v100, v101
	v_cmp_nlt_f32_e64 s[38:39], |v100|, s44
                                        ; implicit-def: $vgpr101
	s_and_saveexec_b64 s[50:51], s[38:39]
	s_xor_b64 s[38:39], exec, s[50:51]
	s_cbranch_execz .LBB27_35
; %bb.34:                               ;   in Loop: Header=BB27_15 Depth=1
	v_add_f32_e64 v101, |v100|, |v100|
	v_mul_f32_e32 v102, 0x3fb8aa3b, v101
	v_rndne_f32_e32 v103, v102
	v_sub_f32_e32 v104, v102, v103
	v_fma_f32 v102, v101, s46, -v102
	v_fmac_f32_e32 v102, 0x32a5705f, v101
	v_add_f32_e32 v102, v104, v102
	v_cvt_i32_f32_e32 v103, v103
	v_exp_f32_e32 v102, v102
	v_cmp_ngt_f32_e32 vcc, s47, v101
	v_ldexp_f32 v102, v102, v103
	s_nop 0
	v_cndmask_b32_e32 v102, 0, v102, vcc
	v_cmp_nlt_f32_e32 vcc, s48, v101
	s_nop 1
	v_cndmask_b32_e32 v101, v77, v102, vcc
	v_add_f32_e32 v101, 1.0, v101
	v_rcp_f32_e32 v101, v101
	s_nop 0
	v_fma_f32 v101, v101, -2.0, 1.0
.LBB27_35:                              ;   in Loop: Header=BB27_15 Depth=1
	s_andn2_saveexec_b64 s[38:39], s[38:39]
; %bb.36:                               ;   in Loop: Header=BB27_15 Depth=1
	v_mul_f32_e32 v101, v100, v100
	v_fmamk_f32 v102, v101, 0xbbbac73d, v76
	v_fmaak_f32 v102, v101, v102, 0xbd5c1c4e
	v_fmaak_f32 v102, v101, v102, 0x3e088382
	;; [unrolled: 1-line block ×3, first 2 shown]
	v_mul_f32_e64 v102, |v100|, v102
	v_fma_f32 v101, v101, v102, |v100|
; %bb.37:                               ;   in Loop: Header=BB27_15 Depth=1
	s_or_b64 exec, exec, s[38:39]
	v_bfi_b32 v100, s49, v101, v100
	s_and_b64 vcc, exec, s[12:13]
	v_mul_f32_e32 v100, s45, v100
	s_cbranch_vccnz .LBB27_39
; %bb.38:                               ;   in Loop: Header=BB27_15 Depth=1
	global_load_ushort v88, v88, s[18:19] offset:6
	s_waitcnt vmcnt(0)
	v_fma_mix_f32 v100, v67, v88, v100 op_sel_hi:[0,1,0]
.LBB27_39:                              ;   in Loop: Header=BB27_15 Depth=1
	v_add_f32_e32 v88, 0x40051340, v79
	v_cndmask_b32_e64 v78, v78, v79, s[6:7]
	v_add_f32_e32 v79, 0x40051340, v98
	v_max3_f32 v79, v80, v88, v79
	v_cndmask_b32_e64 v78, v78, v98, s[8:9]
	v_add_f32_e32 v88, 0x40051340, v99
	v_add_f32_e32 v98, 0x40051340, v100
	v_max3_f32 v79, v79, v88, v98
	ds_bpermute_b32 v88, v72, v79
	v_cndmask_b32_e64 v78, v78, v99, s[10:11]
	v_cndmask_b32_e64 v78, v78, v100, s[4:5]
	s_add_i32 s16, s26, s16
	s_add_u32 s36, s36, s17
	s_waitcnt lgkmcnt(0)
	v_max_f32_e32 v88, v88, v88
	v_max_f32_e32 v79, v79, v88
	ds_bpermute_b32 v88, v73, v79
	s_addc_u32 s37, s37, 0
	s_waitcnt lgkmcnt(0)
	v_max_f32_e32 v88, v88, v88
	v_max_f32_e32 v79, v79, v88
	ds_bpermute_b32 v88, v74, v79
	s_waitcnt lgkmcnt(0)
	v_max_f32_e32 v88, v88, v88
	v_max_f32_e32 v79, v79, v88
	v_sub_f32_e32 v80, v80, v79
	v_mul_f32_e32 v88, 0x3fb8aa3b, v80
	v_fma_f32 v98, v80, s46, -v88
	v_rndne_f32_e32 v99, v88
	v_fmac_f32_e32 v98, 0x32a5705f, v80
	v_sub_f32_e32 v88, v88, v99
	v_add_f32_e32 v88, v88, v98
	v_exp_f32_e32 v88, v88
	v_cvt_i32_f32_e32 v98, v99
	v_cmp_ngt_f32_e32 vcc, s47, v80
	v_sub_f32_e32 v78, v78, v79
	v_ldexp_f32 v88, v88, v98
	v_cndmask_b32_e32 v88, 0, v88, vcc
	v_cmp_nlt_f32_e32 vcc, s48, v80
	s_nop 1
	v_cndmask_b32_e32 v80, v77, v88, vcc
	v_mul_f32_e32 v88, 0x3fb8aa3b, v78
	v_fma_f32 v98, v78, s46, -v88
	v_rndne_f32_e32 v99, v88
	v_fmac_f32_e32 v98, 0x32a5705f, v78
	v_sub_f32_e32 v88, v88, v99
	v_add_f32_e32 v88, v88, v98
	v_exp_f32_e32 v88, v88
	v_cvt_i32_f32_e32 v98, v99
	v_cmp_ngt_f32_e32 vcc, s47, v78
	v_cvt_f16_f32_e32 v106, v80
	v_ldexp_f32 v88, v88, v98
	v_lshl_add_u64 v[98:99], s[20:21], 0, v[48:49]
	v_lshl_add_u64 v[104:105], v[98:99], 0, v[38:39]
	global_load_dwordx4 v[98:101], v[104:105], off
	v_cndmask_b32_e32 v88, 0, v88, vcc
	v_cmp_nlt_f32_e32 vcc, s48, v78
	s_nop 1
	v_cndmask_b32_e32 v78, v77, v88, vcc
	v_cvt_f16_f32_e32 v88, v78
	v_fma_f32 v69, v69, v80, v78
	ds_write_b16 v66, v88
	s_waitcnt vmcnt(0)
	v_lshlrev_b32_e32 v88, 16, v98
	v_and_b32_e32 v98, 0xffff0000, v98
	v_cvt_f16_f32_e32 v98, v98
	v_cvt_f16_f32_e32 v88, v88
	v_pack_b32_f16 v107, v88, v98
	v_lshlrev_b32_e32 v88, 16, v99
	v_and_b32_e32 v98, 0xffff0000, v99
	v_cvt_f16_f32_e32 v98, v98
	v_cvt_f16_f32_e32 v88, v88
	v_pack_b32_f16 v108, v88, v98
	;; [unrolled: 5-line block ×4, first 2 shown]
	ds_read_u16 v111, v75
	ds_read_u16 v103, v75 offset:8
	ds_read_u16 v102, v75 offset:16
	;; [unrolled: 1-line block ×7, first 2 shown]
	s_waitcnt lgkmcnt(7)
	v_pk_mul_f16 v107, v111, v107 op_sel_hi:[0,1]
	v_pk_fma_f16 v107, v106, v93, v107 op_sel_hi:[0,1,1]
	v_pk_mul_f16 v93, v111, v108 op_sel_hi:[0,1]
	v_pk_fma_f16 v108, v106, v92, v93 op_sel_hi:[0,1,1]
	;; [unrolled: 2-line block ×4, first 2 shown]
	global_load_dwordx4 v[90:93], v[104:105], off offset:128
	s_waitcnt vmcnt(0)
	v_lshlrev_b32_e32 v112, 16, v90
	v_and_b32_e32 v90, 0xffff0000, v90
	v_cvt_f16_f32_e32 v90, v90
	v_cvt_f16_f32_e32 v112, v112
	v_pack_b32_f16 v90, v112, v90
	v_lshlrev_b32_e32 v112, 16, v91
	v_and_b32_e32 v91, 0xffff0000, v91
	v_cvt_f16_f32_e32 v91, v91
	v_cvt_f16_f32_e32 v112, v112
	v_pk_mul_f16 v90, v111, v90 op_sel_hi:[0,1]
	v_pk_fma_f16 v89, v106, v89, v90 op_sel_hi:[0,1,1]
	v_pack_b32_f16 v91, v112, v91
	v_lshlrev_b32_e32 v112, 16, v92
	v_and_b32_e32 v92, 0xffff0000, v92
	v_cvt_f16_f32_e32 v92, v92
	v_cvt_f16_f32_e32 v112, v112
	v_pk_mul_f16 v90, v111, v91 op_sel_hi:[0,1]
	v_pack_b32_f16 v92, v112, v92
	v_lshlrev_b32_e32 v112, 16, v93
	v_and_b32_e32 v93, 0xffff0000, v93
	v_cvt_f16_f32_e32 v93, v93
	v_cvt_f16_f32_e32 v112, v112
	v_pack_b32_f16 v93, v112, v93
	v_pk_fma_f16 v112, v106, v87, v90 op_sel_hi:[0,1,1]
	v_pk_mul_f16 v87, v111, v92 op_sel_hi:[0,1]
	v_pk_fma_f16 v113, v106, v86, v87 op_sel_hi:[0,1,1]
	v_pk_mul_f16 v86, v111, v93 op_sel_hi:[0,1]
	global_load_dwordx4 v[90:93], v[104:105], off offset:256
	v_pk_fma_f16 v114, v106, v85, v86 op_sel_hi:[0,1,1]
	s_waitcnt vmcnt(0)
	v_lshlrev_b32_e32 v85, 16, v90
	v_and_b32_e32 v86, 0xffff0000, v90
	v_cvt_f16_f32_e32 v86, v86
	v_cvt_f16_f32_e32 v85, v85
	v_and_b32_e32 v87, 0xffff0000, v91
	v_cvt_f16_f32_e32 v87, v87
	v_and_b32_e32 v90, 0xffff0000, v92
	v_pack_b32_f16 v85, v85, v86
	v_lshlrev_b32_e32 v86, 16, v91
	v_cvt_f16_f32_e32 v86, v86
	v_cvt_f16_f32_e32 v90, v90
	v_and_b32_e32 v91, 0xffff0000, v93
	v_cvt_f16_f32_e32 v91, v91
	v_pack_b32_f16 v86, v86, v87
	v_lshlrev_b32_e32 v87, 16, v92
	v_cvt_f16_f32_e32 v87, v87
	v_pk_mul_f16 v85, v111, v85 op_sel_hi:[0,1]
	v_pack_b32_f16 v87, v87, v90
	v_lshlrev_b32_e32 v90, 16, v93
	v_cvt_f16_f32_e32 v90, v90
	v_pack_b32_f16 v90, v90, v91
	v_pk_fma_f16 v91, v106, v84, v85 op_sel_hi:[0,1,1]
	v_pk_mul_f16 v84, v111, v86 op_sel_hi:[0,1]
	v_pk_fma_f16 v92, v106, v83, v84 op_sel_hi:[0,1,1]
	v_pk_mul_f16 v83, v111, v87 op_sel_hi:[0,1]
	;; [unrolled: 2-line block ×3, first 2 shown]
	v_pk_fma_f16 v81, v106, v81, v82 op_sel_hi:[0,1,1]
	global_load_dwordx4 v[82:85], v[104:105], off offset:384
	s_waitcnt vmcnt(0)
	v_lshlrev_b32_e32 v86, 16, v82
	v_and_b32_e32 v82, 0xffff0000, v82
	v_cvt_f16_f32_e32 v82, v82
	v_cvt_f16_f32_e32 v86, v86
	v_pack_b32_f16 v82, v86, v82
	v_lshlrev_b32_e32 v86, 16, v83
	v_and_b32_e32 v83, 0xffff0000, v83
	v_cvt_f16_f32_e32 v83, v83
	v_cvt_f16_f32_e32 v86, v86
	v_pk_mul_f16 v82, v111, v82 op_sel_hi:[0,1]
	v_pk_fma_f16 v90, v106, v97, v82 op_sel_hi:[0,1,1]
	v_pack_b32_f16 v83, v86, v83
	v_lshlrev_b32_e32 v86, 16, v84
	v_and_b32_e32 v84, 0xffff0000, v84
	v_cvt_f16_f32_e32 v84, v84
	v_cvt_f16_f32_e32 v86, v86
	v_pk_mul_f16 v82, v111, v83 op_sel_hi:[0,1]
	v_pk_fma_f16 v96, v106, v96, v82 op_sel_hi:[0,1,1]
	;; [unrolled: 7-line block ×3, first 2 shown]
	v_pack_b32_f16 v85, v86, v85
	v_pk_mul_f16 v82, v111, v85 op_sel_hi:[0,1]
	v_pk_fma_f16 v94, v106, v94, v82 op_sel_hi:[0,1,1]
	v_lshl_add_u64 v[82:83], s[20:21], 0, v[50:51]
	v_lshl_add_u64 v[86:87], v[82:83], 0, v[38:39]
	global_load_dwordx4 v[82:85], v[86:87], off
	s_waitcnt vmcnt(0)
	v_lshlrev_b32_e32 v97, 16, v82
	v_and_b32_e32 v82, 0xffff0000, v82
	v_cvt_f16_f32_e32 v82, v82
	v_cvt_f16_f32_e32 v97, v97
	v_pack_b32_f16 v82, v97, v82
	v_lshlrev_b32_e32 v97, 16, v83
	v_and_b32_e32 v83, 0xffff0000, v83
	v_cvt_f16_f32_e32 v83, v83
	v_cvt_f16_f32_e32 v97, v97
	v_pack_b32_f16 v83, v97, v83
	v_lshlrev_b32_e32 v97, 16, v84
	v_and_b32_e32 v84, 0xffff0000, v84
	v_cvt_f16_f32_e32 v84, v84
	v_cvt_f16_f32_e32 v97, v97
	s_waitcnt lgkmcnt(6)
	v_pk_fma_f16 v104, v103, v83, v108 op_sel_hi:[0,1,1]
	v_pack_b32_f16 v84, v97, v84
	v_lshlrev_b32_e32 v97, 16, v85
	v_and_b32_e32 v85, 0xffff0000, v85
	v_cvt_f16_f32_e32 v85, v85
	v_cvt_f16_f32_e32 v97, v97
	v_pk_fma_f16 v105, v103, v84, v109 op_sel_hi:[0,1,1]
	v_pack_b32_f16 v85, v97, v85
	v_pk_fma_f16 v97, v103, v82, v107 op_sel_hi:[0,1,1]
	v_pk_fma_f16 v106, v103, v85, v110 op_sel_hi:[0,1,1]
	global_load_dwordx4 v[82:85], v[86:87], off offset:128
	s_waitcnt vmcnt(0)
	v_lshlrev_b32_e32 v107, 16, v82
	v_and_b32_e32 v82, 0xffff0000, v82
	v_cvt_f16_f32_e32 v82, v82
	v_cvt_f16_f32_e32 v107, v107
	v_pack_b32_f16 v82, v107, v82
	v_lshlrev_b32_e32 v107, 16, v83
	v_and_b32_e32 v83, 0xffff0000, v83
	v_cvt_f16_f32_e32 v83, v83
	v_cvt_f16_f32_e32 v107, v107
	v_pk_fma_f16 v89, v103, v82, v89 op_sel_hi:[0,1,1]
	v_pack_b32_f16 v83, v107, v83
	v_lshlrev_b32_e32 v107, 16, v84
	v_and_b32_e32 v84, 0xffff0000, v84
	v_cvt_f16_f32_e32 v84, v84
	v_cvt_f16_f32_e32 v107, v107
	v_pack_b32_f16 v84, v107, v84
	v_lshlrev_b32_e32 v107, 16, v85
	v_and_b32_e32 v85, 0xffff0000, v85
	v_cvt_f16_f32_e32 v85, v85
	v_cvt_f16_f32_e32 v107, v107
	v_pk_fma_f16 v108, v103, v84, v113 op_sel_hi:[0,1,1]
	v_pack_b32_f16 v85, v107, v85
	v_pk_fma_f16 v107, v103, v83, v112 op_sel_hi:[0,1,1]
	v_pk_fma_f16 v109, v103, v85, v114 op_sel_hi:[0,1,1]
	global_load_dwordx4 v[82:85], v[86:87], off offset:256
	s_waitcnt vmcnt(0)
	v_lshlrev_b32_e32 v110, 16, v82
	v_and_b32_e32 v82, 0xffff0000, v82
	v_cvt_f16_f32_e32 v82, v82
	v_cvt_f16_f32_e32 v110, v110
	v_pack_b32_f16 v82, v110, v82
	v_lshlrev_b32_e32 v110, 16, v83
	v_and_b32_e32 v83, 0xffff0000, v83
	v_cvt_f16_f32_e32 v83, v83
	v_cvt_f16_f32_e32 v110, v110
	v_pk_fma_f16 v91, v103, v82, v91 op_sel_hi:[0,1,1]
	v_pack_b32_f16 v83, v110, v83
	v_lshlrev_b32_e32 v110, 16, v84
	v_and_b32_e32 v84, 0xffff0000, v84
	v_cvt_f16_f32_e32 v84, v84
	v_cvt_f16_f32_e32 v110, v110
	v_pk_fma_f16 v92, v103, v83, v92 op_sel_hi:[0,1,1]
	;; [unrolled: 6-line block ×3, first 2 shown]
	v_pack_b32_f16 v85, v110, v85
	v_pk_fma_f16 v81, v103, v85, v81 op_sel_hi:[0,1,1]
	global_load_dwordx4 v[82:85], v[86:87], off offset:384
	s_waitcnt vmcnt(0)
	v_lshlrev_b32_e32 v86, 16, v82
	v_and_b32_e32 v82, 0xffff0000, v82
	v_cvt_f16_f32_e32 v82, v82
	v_cvt_f16_f32_e32 v86, v86
	v_pack_b32_f16 v82, v86, v82
	v_lshlrev_b32_e32 v86, 16, v83
	v_and_b32_e32 v83, 0xffff0000, v83
	v_cvt_f16_f32_e32 v83, v83
	v_cvt_f16_f32_e32 v86, v86
	v_pk_fma_f16 v90, v103, v82, v90 op_sel_hi:[0,1,1]
	v_pack_b32_f16 v83, v86, v83
	v_lshlrev_b32_e32 v86, 16, v84
	v_and_b32_e32 v84, 0xffff0000, v84
	v_cvt_f16_f32_e32 v84, v84
	v_cvt_f16_f32_e32 v86, v86
	v_pk_fma_f16 v96, v103, v83, v96 op_sel_hi:[0,1,1]
	v_lshl_add_u64 v[82:83], s[20:21], 0, v[52:53]
	v_pack_b32_f16 v84, v86, v84
	v_lshlrev_b32_e32 v86, 16, v85
	v_and_b32_e32 v85, 0xffff0000, v85
	v_cvt_f16_f32_e32 v85, v85
	v_cvt_f16_f32_e32 v86, v86
	v_pk_fma_f16 v95, v103, v84, v95 op_sel_hi:[0,1,1]
	v_pack_b32_f16 v85, v86, v85
	v_lshl_add_u64 v[86:87], v[82:83], 0, v[38:39]
	v_pk_fma_f16 v94, v103, v85, v94 op_sel_hi:[0,1,1]
	global_load_dwordx4 v[82:85], v[86:87], off
	s_waitcnt vmcnt(0)
	v_lshlrev_b32_e32 v103, 16, v82
	v_and_b32_e32 v82, 0xffff0000, v82
	v_cvt_f16_f32_e32 v82, v82
	v_cvt_f16_f32_e32 v103, v103
	v_pack_b32_f16 v82, v103, v82
	v_lshlrev_b32_e32 v103, 16, v83
	v_and_b32_e32 v83, 0xffff0000, v83
	v_cvt_f16_f32_e32 v83, v83
	v_cvt_f16_f32_e32 v103, v103
	s_waitcnt lgkmcnt(5)
	v_pk_fma_f16 v97, v102, v82, v97 op_sel_hi:[0,1,1]
	v_pack_b32_f16 v83, v103, v83
	v_lshlrev_b32_e32 v103, 16, v84
	v_and_b32_e32 v84, 0xffff0000, v84
	v_cvt_f16_f32_e32 v84, v84
	v_cvt_f16_f32_e32 v103, v103
	v_pack_b32_f16 v84, v103, v84
	v_lshlrev_b32_e32 v103, 16, v85
	v_and_b32_e32 v85, 0xffff0000, v85
	v_cvt_f16_f32_e32 v85, v85
	v_cvt_f16_f32_e32 v103, v103
	v_pack_b32_f16 v85, v103, v85
	v_pk_fma_f16 v103, v102, v83, v104 op_sel_hi:[0,1,1]
	v_pk_fma_f16 v104, v102, v84, v105 op_sel_hi:[0,1,1]
	;; [unrolled: 1-line block ×3, first 2 shown]
	global_load_dwordx4 v[82:85], v[86:87], off offset:128
	s_waitcnt vmcnt(0)
	v_lshlrev_b32_e32 v106, 16, v82
	v_and_b32_e32 v82, 0xffff0000, v82
	v_cvt_f16_f32_e32 v82, v82
	v_cvt_f16_f32_e32 v106, v106
	v_pack_b32_f16 v82, v106, v82
	v_lshlrev_b32_e32 v106, 16, v83
	v_and_b32_e32 v83, 0xffff0000, v83
	v_cvt_f16_f32_e32 v83, v83
	v_cvt_f16_f32_e32 v106, v106
	v_pk_fma_f16 v89, v102, v82, v89 op_sel_hi:[0,1,1]
	v_pack_b32_f16 v83, v106, v83
	v_lshlrev_b32_e32 v106, 16, v84
	v_and_b32_e32 v84, 0xffff0000, v84
	v_cvt_f16_f32_e32 v84, v84
	v_cvt_f16_f32_e32 v106, v106
	v_pack_b32_f16 v84, v106, v84
	v_lshlrev_b32_e32 v106, 16, v85
	v_and_b32_e32 v85, 0xffff0000, v85
	v_cvt_f16_f32_e32 v85, v85
	v_cvt_f16_f32_e32 v106, v106
	v_pack_b32_f16 v85, v106, v85
	v_pk_fma_f16 v106, v102, v83, v107 op_sel_hi:[0,1,1]
	v_pk_fma_f16 v107, v102, v84, v108 op_sel_hi:[0,1,1]
	v_pk_fma_f16 v108, v102, v85, v109 op_sel_hi:[0,1,1]
	global_load_dwordx4 v[82:85], v[86:87], off offset:256
	s_waitcnt vmcnt(0)
	v_lshlrev_b32_e32 v109, 16, v82
	v_and_b32_e32 v82, 0xffff0000, v82
	v_cvt_f16_f32_e32 v82, v82
	v_cvt_f16_f32_e32 v109, v109
	v_pack_b32_f16 v82, v109, v82
	v_lshlrev_b32_e32 v109, 16, v83
	v_and_b32_e32 v83, 0xffff0000, v83
	v_cvt_f16_f32_e32 v83, v83
	v_cvt_f16_f32_e32 v109, v109
	v_pk_fma_f16 v91, v102, v82, v91 op_sel_hi:[0,1,1]
	v_pack_b32_f16 v83, v109, v83
	v_lshlrev_b32_e32 v109, 16, v84
	v_and_b32_e32 v84, 0xffff0000, v84
	v_cvt_f16_f32_e32 v84, v84
	v_cvt_f16_f32_e32 v109, v109
	v_pk_fma_f16 v92, v102, v83, v92 op_sel_hi:[0,1,1]
	;; [unrolled: 6-line block ×3, first 2 shown]
	v_pack_b32_f16 v85, v109, v85
	v_pk_fma_f16 v81, v102, v85, v81 op_sel_hi:[0,1,1]
	global_load_dwordx4 v[82:85], v[86:87], off offset:384
	s_waitcnt vmcnt(0)
	v_lshlrev_b32_e32 v86, 16, v82
	v_and_b32_e32 v82, 0xffff0000, v82
	v_cvt_f16_f32_e32 v82, v82
	v_cvt_f16_f32_e32 v86, v86
	v_pack_b32_f16 v82, v86, v82
	v_lshlrev_b32_e32 v86, 16, v83
	v_and_b32_e32 v83, 0xffff0000, v83
	v_cvt_f16_f32_e32 v83, v83
	v_cvt_f16_f32_e32 v86, v86
	v_pk_fma_f16 v90, v102, v82, v90 op_sel_hi:[0,1,1]
	v_pack_b32_f16 v83, v86, v83
	v_lshlrev_b32_e32 v86, 16, v84
	v_and_b32_e32 v84, 0xffff0000, v84
	v_cvt_f16_f32_e32 v84, v84
	v_cvt_f16_f32_e32 v86, v86
	v_pk_fma_f16 v96, v102, v83, v96 op_sel_hi:[0,1,1]
	v_lshl_add_u64 v[82:83], s[20:21], 0, v[54:55]
	v_pack_b32_f16 v84, v86, v84
	v_lshlrev_b32_e32 v86, 16, v85
	v_and_b32_e32 v85, 0xffff0000, v85
	v_cvt_f16_f32_e32 v85, v85
	v_cvt_f16_f32_e32 v86, v86
	v_pk_fma_f16 v95, v102, v84, v95 op_sel_hi:[0,1,1]
	v_pack_b32_f16 v85, v86, v85
	v_lshl_add_u64 v[86:87], v[82:83], 0, v[38:39]
	v_pk_fma_f16 v94, v102, v85, v94 op_sel_hi:[0,1,1]
	global_load_dwordx4 v[82:85], v[86:87], off
	s_waitcnt vmcnt(0)
	v_lshlrev_b32_e32 v102, 16, v82
	v_and_b32_e32 v82, 0xffff0000, v82
	v_cvt_f16_f32_e32 v82, v82
	v_cvt_f16_f32_e32 v102, v102
	v_pack_b32_f16 v82, v102, v82
	v_lshlrev_b32_e32 v102, 16, v83
	v_and_b32_e32 v83, 0xffff0000, v83
	v_cvt_f16_f32_e32 v83, v83
	v_cvt_f16_f32_e32 v102, v102
	s_waitcnt lgkmcnt(4)
	v_pk_fma_f16 v97, v101, v82, v97 op_sel_hi:[0,1,1]
	v_pack_b32_f16 v83, v102, v83
	v_lshlrev_b32_e32 v102, 16, v84
	v_and_b32_e32 v84, 0xffff0000, v84
	v_cvt_f16_f32_e32 v84, v84
	v_cvt_f16_f32_e32 v102, v102
	v_pack_b32_f16 v84, v102, v84
	v_lshlrev_b32_e32 v102, 16, v85
	v_and_b32_e32 v85, 0xffff0000, v85
	v_cvt_f16_f32_e32 v85, v85
	v_cvt_f16_f32_e32 v102, v102
	v_pack_b32_f16 v85, v102, v85
	v_pk_fma_f16 v102, v101, v83, v103 op_sel_hi:[0,1,1]
	v_pk_fma_f16 v103, v101, v84, v104 op_sel_hi:[0,1,1]
	;; [unrolled: 1-line block ×3, first 2 shown]
	global_load_dwordx4 v[82:85], v[86:87], off offset:128
	s_waitcnt vmcnt(0)
	v_lshlrev_b32_e32 v105, 16, v82
	v_and_b32_e32 v82, 0xffff0000, v82
	v_cvt_f16_f32_e32 v82, v82
	v_cvt_f16_f32_e32 v105, v105
	v_pack_b32_f16 v82, v105, v82
	v_lshlrev_b32_e32 v105, 16, v83
	v_and_b32_e32 v83, 0xffff0000, v83
	v_cvt_f16_f32_e32 v83, v83
	v_cvt_f16_f32_e32 v105, v105
	v_pk_fma_f16 v89, v101, v82, v89 op_sel_hi:[0,1,1]
	v_pack_b32_f16 v83, v105, v83
	v_lshlrev_b32_e32 v105, 16, v84
	v_and_b32_e32 v84, 0xffff0000, v84
	v_cvt_f16_f32_e32 v84, v84
	v_cvt_f16_f32_e32 v105, v105
	v_pack_b32_f16 v84, v105, v84
	v_lshlrev_b32_e32 v105, 16, v85
	v_and_b32_e32 v85, 0xffff0000, v85
	v_cvt_f16_f32_e32 v85, v85
	v_cvt_f16_f32_e32 v105, v105
	v_pack_b32_f16 v85, v105, v85
	v_pk_fma_f16 v105, v101, v83, v106 op_sel_hi:[0,1,1]
	v_pk_fma_f16 v106, v101, v84, v107 op_sel_hi:[0,1,1]
	;; [unrolled: 1-line block ×3, first 2 shown]
	global_load_dwordx4 v[82:85], v[86:87], off offset:256
	s_waitcnt vmcnt(0)
	v_lshlrev_b32_e32 v108, 16, v82
	v_and_b32_e32 v82, 0xffff0000, v82
	v_cvt_f16_f32_e32 v82, v82
	v_cvt_f16_f32_e32 v108, v108
	v_pack_b32_f16 v82, v108, v82
	v_lshlrev_b32_e32 v108, 16, v83
	v_and_b32_e32 v83, 0xffff0000, v83
	v_cvt_f16_f32_e32 v83, v83
	v_cvt_f16_f32_e32 v108, v108
	v_pk_fma_f16 v91, v101, v82, v91 op_sel_hi:[0,1,1]
	v_pack_b32_f16 v83, v108, v83
	v_lshlrev_b32_e32 v108, 16, v84
	v_and_b32_e32 v84, 0xffff0000, v84
	v_cvt_f16_f32_e32 v84, v84
	v_cvt_f16_f32_e32 v108, v108
	v_pk_fma_f16 v92, v101, v83, v92 op_sel_hi:[0,1,1]
	;; [unrolled: 6-line block ×3, first 2 shown]
	v_pack_b32_f16 v85, v108, v85
	v_pk_fma_f16 v81, v101, v85, v81 op_sel_hi:[0,1,1]
	global_load_dwordx4 v[82:85], v[86:87], off offset:384
	s_waitcnt vmcnt(0)
	v_lshlrev_b32_e32 v86, 16, v82
	v_and_b32_e32 v82, 0xffff0000, v82
	v_cvt_f16_f32_e32 v82, v82
	v_cvt_f16_f32_e32 v86, v86
	v_pack_b32_f16 v82, v86, v82
	v_lshlrev_b32_e32 v86, 16, v83
	v_and_b32_e32 v83, 0xffff0000, v83
	v_cvt_f16_f32_e32 v83, v83
	v_cvt_f16_f32_e32 v86, v86
	v_pk_fma_f16 v90, v101, v82, v90 op_sel_hi:[0,1,1]
	v_pack_b32_f16 v83, v86, v83
	v_lshlrev_b32_e32 v86, 16, v84
	v_and_b32_e32 v84, 0xffff0000, v84
	v_cvt_f16_f32_e32 v84, v84
	v_cvt_f16_f32_e32 v86, v86
	v_pk_fma_f16 v96, v101, v83, v96 op_sel_hi:[0,1,1]
	v_lshl_add_u64 v[82:83], s[20:21], 0, v[56:57]
	v_pack_b32_f16 v84, v86, v84
	v_lshlrev_b32_e32 v86, 16, v85
	v_and_b32_e32 v85, 0xffff0000, v85
	v_cvt_f16_f32_e32 v85, v85
	v_cvt_f16_f32_e32 v86, v86
	v_pk_fma_f16 v95, v101, v84, v95 op_sel_hi:[0,1,1]
	v_pack_b32_f16 v85, v86, v85
	v_lshl_add_u64 v[86:87], v[82:83], 0, v[38:39]
	v_pk_fma_f16 v94, v101, v85, v94 op_sel_hi:[0,1,1]
	global_load_dwordx4 v[82:85], v[86:87], off
	s_waitcnt vmcnt(0)
	v_lshlrev_b32_e32 v101, 16, v82
	v_and_b32_e32 v82, 0xffff0000, v82
	v_cvt_f16_f32_e32 v82, v82
	v_cvt_f16_f32_e32 v101, v101
	v_pack_b32_f16 v82, v101, v82
	v_lshlrev_b32_e32 v101, 16, v83
	v_and_b32_e32 v83, 0xffff0000, v83
	v_cvt_f16_f32_e32 v83, v83
	v_cvt_f16_f32_e32 v101, v101
	s_waitcnt lgkmcnt(3)
	v_pk_fma_f16 v97, v100, v82, v97 op_sel_hi:[0,1,1]
	v_pack_b32_f16 v83, v101, v83
	v_lshlrev_b32_e32 v101, 16, v84
	v_and_b32_e32 v84, 0xffff0000, v84
	v_cvt_f16_f32_e32 v84, v84
	v_cvt_f16_f32_e32 v101, v101
	v_pack_b32_f16 v84, v101, v84
	v_lshlrev_b32_e32 v101, 16, v85
	v_and_b32_e32 v85, 0xffff0000, v85
	v_cvt_f16_f32_e32 v85, v85
	v_cvt_f16_f32_e32 v101, v101
	v_pack_b32_f16 v85, v101, v85
	v_pk_fma_f16 v101, v100, v83, v102 op_sel_hi:[0,1,1]
	v_pk_fma_f16 v102, v100, v84, v103 op_sel_hi:[0,1,1]
	;; [unrolled: 1-line block ×3, first 2 shown]
	global_load_dwordx4 v[82:85], v[86:87], off offset:128
	s_waitcnt vmcnt(0)
	v_lshlrev_b32_e32 v104, 16, v82
	v_and_b32_e32 v82, 0xffff0000, v82
	v_cvt_f16_f32_e32 v82, v82
	v_cvt_f16_f32_e32 v104, v104
	v_pack_b32_f16 v82, v104, v82
	v_lshlrev_b32_e32 v104, 16, v83
	v_and_b32_e32 v83, 0xffff0000, v83
	v_cvt_f16_f32_e32 v83, v83
	v_cvt_f16_f32_e32 v104, v104
	v_pk_fma_f16 v89, v100, v82, v89 op_sel_hi:[0,1,1]
	v_pack_b32_f16 v83, v104, v83
	v_lshlrev_b32_e32 v104, 16, v84
	v_and_b32_e32 v84, 0xffff0000, v84
	v_cvt_f16_f32_e32 v84, v84
	v_cvt_f16_f32_e32 v104, v104
	v_pack_b32_f16 v84, v104, v84
	v_lshlrev_b32_e32 v104, 16, v85
	v_and_b32_e32 v85, 0xffff0000, v85
	v_cvt_f16_f32_e32 v85, v85
	v_cvt_f16_f32_e32 v104, v104
	v_pack_b32_f16 v85, v104, v85
	v_pk_fma_f16 v104, v100, v83, v105 op_sel_hi:[0,1,1]
	v_pk_fma_f16 v105, v100, v84, v106 op_sel_hi:[0,1,1]
	;; [unrolled: 1-line block ×3, first 2 shown]
	global_load_dwordx4 v[82:85], v[86:87], off offset:256
	s_waitcnt vmcnt(0)
	v_lshlrev_b32_e32 v107, 16, v82
	v_and_b32_e32 v82, 0xffff0000, v82
	v_cvt_f16_f32_e32 v82, v82
	v_cvt_f16_f32_e32 v107, v107
	v_pack_b32_f16 v82, v107, v82
	v_lshlrev_b32_e32 v107, 16, v83
	v_and_b32_e32 v83, 0xffff0000, v83
	v_cvt_f16_f32_e32 v83, v83
	v_cvt_f16_f32_e32 v107, v107
	v_pk_fma_f16 v91, v100, v82, v91 op_sel_hi:[0,1,1]
	v_pack_b32_f16 v83, v107, v83
	v_lshlrev_b32_e32 v107, 16, v84
	v_and_b32_e32 v84, 0xffff0000, v84
	v_cvt_f16_f32_e32 v84, v84
	v_cvt_f16_f32_e32 v107, v107
	v_pk_fma_f16 v92, v100, v83, v92 op_sel_hi:[0,1,1]
	;; [unrolled: 6-line block ×3, first 2 shown]
	v_pack_b32_f16 v85, v107, v85
	v_pk_fma_f16 v81, v100, v85, v81 op_sel_hi:[0,1,1]
	global_load_dwordx4 v[82:85], v[86:87], off offset:384
	s_waitcnt vmcnt(0)
	v_lshlrev_b32_e32 v86, 16, v82
	v_and_b32_e32 v82, 0xffff0000, v82
	v_cvt_f16_f32_e32 v82, v82
	v_cvt_f16_f32_e32 v86, v86
	v_pack_b32_f16 v82, v86, v82
	v_lshlrev_b32_e32 v86, 16, v83
	v_and_b32_e32 v83, 0xffff0000, v83
	v_cvt_f16_f32_e32 v83, v83
	v_cvt_f16_f32_e32 v86, v86
	v_pk_fma_f16 v90, v100, v82, v90 op_sel_hi:[0,1,1]
	v_pack_b32_f16 v83, v86, v83
	v_lshlrev_b32_e32 v86, 16, v84
	v_and_b32_e32 v84, 0xffff0000, v84
	v_cvt_f16_f32_e32 v84, v84
	v_cvt_f16_f32_e32 v86, v86
	v_pk_fma_f16 v96, v100, v83, v96 op_sel_hi:[0,1,1]
	v_lshl_add_u64 v[82:83], s[20:21], 0, v[58:59]
	v_pack_b32_f16 v84, v86, v84
	v_lshlrev_b32_e32 v86, 16, v85
	v_and_b32_e32 v85, 0xffff0000, v85
	v_cvt_f16_f32_e32 v85, v85
	v_cvt_f16_f32_e32 v86, v86
	v_pk_fma_f16 v95, v100, v84, v95 op_sel_hi:[0,1,1]
	v_pack_b32_f16 v85, v86, v85
	v_lshl_add_u64 v[86:87], v[82:83], 0, v[38:39]
	v_pk_fma_f16 v94, v100, v85, v94 op_sel_hi:[0,1,1]
	global_load_dwordx4 v[82:85], v[86:87], off
	s_waitcnt vmcnt(0)
	v_lshlrev_b32_e32 v100, 16, v82
	v_and_b32_e32 v82, 0xffff0000, v82
	v_cvt_f16_f32_e32 v82, v82
	v_cvt_f16_f32_e32 v100, v100
	v_pack_b32_f16 v82, v100, v82
	v_lshlrev_b32_e32 v100, 16, v83
	v_and_b32_e32 v83, 0xffff0000, v83
	v_cvt_f16_f32_e32 v83, v83
	v_cvt_f16_f32_e32 v100, v100
	s_waitcnt lgkmcnt(2)
	v_pk_fma_f16 v97, v99, v82, v97 op_sel_hi:[0,1,1]
	v_pack_b32_f16 v83, v100, v83
	v_lshlrev_b32_e32 v100, 16, v84
	v_and_b32_e32 v84, 0xffff0000, v84
	v_cvt_f16_f32_e32 v84, v84
	v_cvt_f16_f32_e32 v100, v100
	v_pack_b32_f16 v84, v100, v84
	v_lshlrev_b32_e32 v100, 16, v85
	v_and_b32_e32 v85, 0xffff0000, v85
	v_cvt_f16_f32_e32 v85, v85
	v_cvt_f16_f32_e32 v100, v100
	v_pack_b32_f16 v85, v100, v85
	v_pk_fma_f16 v100, v99, v83, v101 op_sel_hi:[0,1,1]
	v_pk_fma_f16 v101, v99, v84, v102 op_sel_hi:[0,1,1]
	;; [unrolled: 1-line block ×3, first 2 shown]
	global_load_dwordx4 v[82:85], v[86:87], off offset:128
	s_waitcnt vmcnt(0)
	v_lshlrev_b32_e32 v103, 16, v82
	v_and_b32_e32 v82, 0xffff0000, v82
	v_cvt_f16_f32_e32 v82, v82
	v_cvt_f16_f32_e32 v103, v103
	v_pack_b32_f16 v82, v103, v82
	v_lshlrev_b32_e32 v103, 16, v83
	v_and_b32_e32 v83, 0xffff0000, v83
	v_cvt_f16_f32_e32 v83, v83
	v_cvt_f16_f32_e32 v103, v103
	v_pk_fma_f16 v89, v99, v82, v89 op_sel_hi:[0,1,1]
	v_pack_b32_f16 v83, v103, v83
	v_lshlrev_b32_e32 v103, 16, v84
	v_and_b32_e32 v84, 0xffff0000, v84
	v_cvt_f16_f32_e32 v84, v84
	v_cvt_f16_f32_e32 v103, v103
	v_pack_b32_f16 v84, v103, v84
	v_lshlrev_b32_e32 v103, 16, v85
	v_and_b32_e32 v85, 0xffff0000, v85
	v_cvt_f16_f32_e32 v85, v85
	v_cvt_f16_f32_e32 v103, v103
	v_pack_b32_f16 v85, v103, v85
	v_pk_fma_f16 v103, v99, v83, v104 op_sel_hi:[0,1,1]
	v_pk_fma_f16 v104, v99, v84, v105 op_sel_hi:[0,1,1]
	;; [unrolled: 1-line block ×3, first 2 shown]
	global_load_dwordx4 v[82:85], v[86:87], off offset:256
	s_waitcnt vmcnt(0)
	v_lshlrev_b32_e32 v106, 16, v82
	v_and_b32_e32 v82, 0xffff0000, v82
	v_cvt_f16_f32_e32 v82, v82
	v_cvt_f16_f32_e32 v106, v106
	v_pack_b32_f16 v82, v106, v82
	v_lshlrev_b32_e32 v106, 16, v83
	v_and_b32_e32 v83, 0xffff0000, v83
	v_cvt_f16_f32_e32 v83, v83
	v_cvt_f16_f32_e32 v106, v106
	v_pk_fma_f16 v91, v99, v82, v91 op_sel_hi:[0,1,1]
	v_pack_b32_f16 v83, v106, v83
	v_lshlrev_b32_e32 v106, 16, v84
	v_and_b32_e32 v84, 0xffff0000, v84
	v_cvt_f16_f32_e32 v84, v84
	v_cvt_f16_f32_e32 v106, v106
	v_pk_fma_f16 v92, v99, v83, v92 op_sel_hi:[0,1,1]
	v_pack_b32_f16 v84, v106, v84
	v_lshlrev_b32_e32 v106, 16, v85
	v_and_b32_e32 v85, 0xffff0000, v85
	v_cvt_f16_f32_e32 v85, v85
	v_cvt_f16_f32_e32 v106, v106
	v_pk_fma_f16 v93, v99, v84, v93 op_sel_hi:[0,1,1]
	v_pack_b32_f16 v85, v106, v85
	v_pk_fma_f16 v81, v99, v85, v81 op_sel_hi:[0,1,1]
	global_load_dwordx4 v[82:85], v[86:87], off offset:384
	s_waitcnt vmcnt(0)
	v_lshlrev_b32_e32 v86, 16, v82
	v_and_b32_e32 v82, 0xffff0000, v82
	v_cvt_f16_f32_e32 v82, v82
	v_cvt_f16_f32_e32 v86, v86
	v_pack_b32_f16 v82, v86, v82
	v_lshlrev_b32_e32 v86, 16, v83
	v_and_b32_e32 v83, 0xffff0000, v83
	v_cvt_f16_f32_e32 v83, v83
	v_cvt_f16_f32_e32 v86, v86
	v_pk_fma_f16 v90, v99, v82, v90 op_sel_hi:[0,1,1]
	v_pack_b32_f16 v83, v86, v83
	v_lshlrev_b32_e32 v86, 16, v84
	v_and_b32_e32 v84, 0xffff0000, v84
	v_cvt_f16_f32_e32 v84, v84
	v_cvt_f16_f32_e32 v86, v86
	v_pk_fma_f16 v96, v99, v83, v96 op_sel_hi:[0,1,1]
	v_lshl_add_u64 v[82:83], s[20:21], 0, v[60:61]
	v_pack_b32_f16 v84, v86, v84
	v_lshlrev_b32_e32 v86, 16, v85
	v_and_b32_e32 v85, 0xffff0000, v85
	v_cvt_f16_f32_e32 v85, v85
	v_cvt_f16_f32_e32 v86, v86
	v_pk_fma_f16 v95, v99, v84, v95 op_sel_hi:[0,1,1]
	v_pack_b32_f16 v85, v86, v85
	v_lshl_add_u64 v[86:87], v[82:83], 0, v[38:39]
	v_pk_fma_f16 v94, v99, v85, v94 op_sel_hi:[0,1,1]
	global_load_dwordx4 v[82:85], v[86:87], off
	s_waitcnt vmcnt(0)
	v_lshlrev_b32_e32 v99, 16, v82
	v_and_b32_e32 v82, 0xffff0000, v82
	v_cvt_f16_f32_e32 v82, v82
	v_cvt_f16_f32_e32 v99, v99
	v_pack_b32_f16 v82, v99, v82
	v_lshlrev_b32_e32 v99, 16, v83
	v_and_b32_e32 v83, 0xffff0000, v83
	v_cvt_f16_f32_e32 v83, v83
	v_cvt_f16_f32_e32 v99, v99
	s_waitcnt lgkmcnt(1)
	v_pk_fma_f16 v97, v98, v82, v97 op_sel_hi:[0,1,1]
	v_pack_b32_f16 v83, v99, v83
	v_lshlrev_b32_e32 v99, 16, v84
	v_and_b32_e32 v84, 0xffff0000, v84
	v_cvt_f16_f32_e32 v84, v84
	v_cvt_f16_f32_e32 v99, v99
	v_pk_fma_f16 v100, v98, v83, v100 op_sel_hi:[0,1,1]
	v_pack_b32_f16 v84, v99, v84
	v_lshlrev_b32_e32 v99, 16, v85
	v_and_b32_e32 v85, 0xffff0000, v85
	v_cvt_f16_f32_e32 v85, v85
	v_cvt_f16_f32_e32 v99, v99
	v_pk_fma_f16 v101, v98, v84, v101 op_sel_hi:[0,1,1]
	v_pack_b32_f16 v85, v99, v85
	v_pk_fma_f16 v102, v98, v85, v102 op_sel_hi:[0,1,1]
	global_load_dwordx4 v[82:85], v[86:87], off offset:128
	s_waitcnt vmcnt(0)
	v_lshlrev_b32_e32 v99, 16, v82
	v_and_b32_e32 v82, 0xffff0000, v82
	v_cvt_f16_f32_e32 v82, v82
	v_cvt_f16_f32_e32 v99, v99
	v_pack_b32_f16 v82, v99, v82
	v_lshlrev_b32_e32 v99, 16, v83
	v_and_b32_e32 v83, 0xffff0000, v83
	v_cvt_f16_f32_e32 v83, v83
	v_cvt_f16_f32_e32 v99, v99
	v_pk_fma_f16 v89, v98, v82, v89 op_sel_hi:[0,1,1]
	v_pack_b32_f16 v83, v99, v83
	v_lshlrev_b32_e32 v99, 16, v84
	v_and_b32_e32 v84, 0xffff0000, v84
	v_cvt_f16_f32_e32 v84, v84
	v_cvt_f16_f32_e32 v99, v99
	v_pk_fma_f16 v103, v98, v83, v103 op_sel_hi:[0,1,1]
	v_pack_b32_f16 v84, v99, v84
	v_lshlrev_b32_e32 v99, 16, v85
	v_and_b32_e32 v85, 0xffff0000, v85
	v_cvt_f16_f32_e32 v85, v85
	v_cvt_f16_f32_e32 v99, v99
	v_pk_fma_f16 v104, v98, v84, v104 op_sel_hi:[0,1,1]
	v_pack_b32_f16 v85, v99, v85
	v_pk_fma_f16 v105, v98, v85, v105 op_sel_hi:[0,1,1]
	global_load_dwordx4 v[82:85], v[86:87], off offset:256
	s_waitcnt vmcnt(0)
	v_lshlrev_b32_e32 v99, 16, v82
	v_and_b32_e32 v82, 0xffff0000, v82
	v_cvt_f16_f32_e32 v82, v82
	v_cvt_f16_f32_e32 v99, v99
	v_pack_b32_f16 v82, v99, v82
	v_lshlrev_b32_e32 v99, 16, v83
	v_and_b32_e32 v83, 0xffff0000, v83
	v_cvt_f16_f32_e32 v83, v83
	v_cvt_f16_f32_e32 v99, v99
	;; [unrolled: 26-line block ×3, first 2 shown]
	v_pk_fma_f16 v109, v98, v82, v90 op_sel_hi:[0,1,1]
	v_pack_b32_f16 v83, v86, v83
	v_lshlrev_b32_e32 v86, 16, v84
	v_and_b32_e32 v84, 0xffff0000, v84
	v_cvt_f16_f32_e32 v84, v84
	v_cvt_f16_f32_e32 v86, v86
	v_pk_fma_f16 v110, v98, v83, v96 op_sel_hi:[0,1,1]
	v_lshl_add_u64 v[82:83], s[20:21], 0, v[62:63]
	s_add_u32 s20, s20, s43
	v_pack_b32_f16 v84, v86, v84
	v_lshlrev_b32_e32 v86, 16, v85
	v_and_b32_e32 v85, 0xffff0000, v85
	v_cvt_f16_f32_e32 v85, v85
	v_cvt_f16_f32_e32 v86, v86
	v_pk_fma_f16 v111, v98, v84, v95 op_sel_hi:[0,1,1]
	s_addc_u32 s21, s21, 0
	s_lshl_b64 s[12:13], s[26:27], 1
	v_pack_b32_f16 v85, v86, v85
	v_pk_fma_f16 v112, v98, v85, v94 op_sel_hi:[0,1,1]
	v_lshl_add_u64 v[98:99], v[82:83], 0, v[38:39]
	global_load_dwordx4 v[82:85], v[98:99], off
	s_add_u32 s18, s18, s12
	s_addc_u32 s19, s19, s13
	s_cmp_ge_i32 s16, s42
	s_waitcnt vmcnt(0)
	v_lshlrev_b32_e32 v86, 16, v82
	v_and_b32_e32 v82, 0xffff0000, v82
	v_cvt_f16_f32_e32 v82, v82
	v_cvt_f16_f32_e32 v86, v86
	v_pack_b32_f16 v82, v86, v82
	v_lshlrev_b32_e32 v86, 16, v83
	v_and_b32_e32 v83, 0xffff0000, v83
	v_cvt_f16_f32_e32 v83, v83
	v_cvt_f16_f32_e32 v86, v86
	s_waitcnt lgkmcnt(0)
	v_pk_fma_f16 v93, v88, v82, v97 op_sel_hi:[0,1,1]
	global_load_dwordx4 v[94:97], v[98:99], off offset:256
	v_pack_b32_f16 v83, v86, v83
	v_lshlrev_b32_e32 v86, 16, v84
	v_and_b32_e32 v84, 0xffff0000, v84
	v_cvt_f16_f32_e32 v84, v84
	v_cvt_f16_f32_e32 v86, v86
	v_pk_fma_f16 v92, v88, v83, v100 op_sel_hi:[0,1,1]
	v_pack_b32_f16 v84, v86, v84
	v_lshlrev_b32_e32 v86, 16, v85
	v_and_b32_e32 v85, 0xffff0000, v85
	v_cvt_f16_f32_e32 v85, v85
	v_cvt_f16_f32_e32 v86, v86
	v_pk_fma_f16 v91, v88, v84, v101 op_sel_hi:[0,1,1]
	v_pack_b32_f16 v85, v86, v85
	v_pk_fma_f16 v90, v88, v85, v102 op_sel_hi:[0,1,1]
	global_load_dwordx4 v[82:85], v[98:99], off offset:128
	s_waitcnt vmcnt(0)
	v_lshlrev_b32_e32 v86, 16, v82
	v_and_b32_e32 v82, 0xffff0000, v82
	v_cvt_f16_f32_e32 v82, v82
	v_cvt_f16_f32_e32 v86, v86
	v_pack_b32_f16 v82, v86, v82
	v_lshlrev_b32_e32 v86, 16, v83
	v_and_b32_e32 v83, 0xffff0000, v83
	v_cvt_f16_f32_e32 v83, v83
	v_cvt_f16_f32_e32 v86, v86
	v_pk_fma_f16 v89, v88, v82, v89 op_sel_hi:[0,1,1]
	v_lshlrev_b32_e32 v82, 16, v94
	v_cvt_f16_f32_e32 v82, v82
	v_pack_b32_f16 v83, v86, v83
	v_lshlrev_b32_e32 v86, 16, v84
	v_and_b32_e32 v84, 0xffff0000, v84
	v_cvt_f16_f32_e32 v84, v84
	v_cvt_f16_f32_e32 v86, v86
	v_pk_fma_f16 v87, v88, v83, v103 op_sel_hi:[0,1,1]
	v_and_b32_e32 v83, 0xffff0000, v94
	v_cvt_f16_f32_e32 v83, v83
	v_pack_b32_f16 v84, v86, v84
	v_lshlrev_b32_e32 v86, 16, v85
	v_and_b32_e32 v85, 0xffff0000, v85
	v_cvt_f16_f32_e32 v85, v85
	v_cvt_f16_f32_e32 v86, v86
	v_pack_b32_f16 v82, v82, v83
	v_lshlrev_b32_e32 v83, 16, v95
	v_cvt_f16_f32_e32 v83, v83
	v_pack_b32_f16 v85, v86, v85
	v_pk_fma_f16 v86, v88, v84, v104 op_sel_hi:[0,1,1]
	v_and_b32_e32 v84, 0xffff0000, v95
	v_cvt_f16_f32_e32 v84, v84
	v_and_b32_e32 v94, 0xffff0000, v96
	v_cvt_f16_f32_e32 v94, v94
	v_and_b32_e32 v95, 0xffff0000, v97
	v_pack_b32_f16 v83, v83, v84
	v_lshlrev_b32_e32 v84, 16, v96
	v_cvt_f16_f32_e32 v84, v84
	v_cvt_f16_f32_e32 v95, v95
	v_pk_fma_f16 v85, v88, v85, v105 op_sel_hi:[0,1,1]
	v_pk_fma_f16 v83, v88, v83, v107 op_sel_hi:[0,1,1]
	v_pack_b32_f16 v94, v84, v94
	v_lshlrev_b32_e32 v84, 16, v97
	v_cvt_f16_f32_e32 v84, v84
	v_pack_b32_f16 v95, v84, v95
	v_pk_fma_f16 v84, v88, v82, v106 op_sel_hi:[0,1,1]
	v_pk_fma_f16 v82, v88, v94, v108 op_sel_hi:[0,1,1]
	;; [unrolled: 1-line block ×3, first 2 shown]
	global_load_dwordx4 v[94:97], v[98:99], off offset:384
	s_waitcnt vmcnt(0)
	v_lshlrev_b32_e32 v98, 16, v94
	v_and_b32_e32 v94, 0xffff0000, v94
	v_cvt_f16_f32_e32 v94, v94
	v_cvt_f16_f32_e32 v98, v98
	v_pack_b32_f16 v94, v98, v94
	v_lshlrev_b32_e32 v98, 16, v95
	v_and_b32_e32 v95, 0xffff0000, v95
	v_cvt_f16_f32_e32 v95, v95
	v_cvt_f16_f32_e32 v98, v98
	v_pack_b32_f16 v95, v98, v95
	;; [unrolled: 5-line block ×4, first 2 shown]
	v_pk_fma_f16 v97, v88, v94, v109 op_sel_hi:[0,1,1]
	v_pk_fma_f16 v96, v88, v95, v110 op_sel_hi:[0,1,1]
	;; [unrolled: 1-line block ×4, first 2 shown]
	s_cbranch_scc1 .LBB27_41
; %bb.40:                               ;   in Loop: Header=BB27_15 Depth=1
	v_mov_b32_e32 v80, v79
	s_branch .LBB27_15
.LBB27_41:
	s_cmp_lg_u64 s[24:25], 0
	v_or_b32_e32 v0, s3, v35
	s_cselect_b64 s[4:5], -1, 0
	v_cmp_eq_u32_e32 vcc, 0, v0
	s_and_b64 s[6:7], vcc, s[4:5]
	s_and_saveexec_b64 s[4:5], s[6:7]
	s_cbranch_execz .LBB27_43
; %bb.42:
	s_lshl_b64 s[6:7], s[40:41], 2
	s_add_u32 s6, s24, s6
	s_addc_u32 s7, s25, s7
	s_load_dword s6, s[6:7], 0x0
	v_max_f32_e32 v0, v79, v79
	s_mov_b32 s7, 0x3fb8aa3b
	s_mov_b32 s8, 0xc2ce8ed0
	;; [unrolled: 1-line block ×3, first 2 shown]
	s_waitcnt lgkmcnt(0)
	v_max_f32_e64 v1, s6, s6
	v_max_f32_e32 v0, v1, v0
	v_sub_f32_e32 v1, v79, v0
	v_mul_f32_e32 v2, 0x3fb8aa3b, v1
	v_fma_f32 v3, v1, s7, -v2
	v_rndne_f32_e32 v4, v2
	v_fmac_f32_e32 v3, 0x32a5705f, v1
	v_sub_f32_e32 v2, v2, v4
	v_add_f32_e32 v2, v2, v3
	v_cvt_i32_f32_e32 v3, v4
	v_exp_f32_e32 v2, v2
	v_cmp_ngt_f32_e32 vcc, s8, v1
	v_mov_b32_e32 v79, v0
	v_ldexp_f32 v2, v2, v3
	v_sub_f32_e32 v3, s6, v0
	v_mul_f32_e32 v4, 0x3fb8aa3b, v3
	v_fma_f32 v5, v3, s7, -v4
	v_rndne_f32_e32 v6, v4
	v_fmac_f32_e32 v5, 0x32a5705f, v3
	v_sub_f32_e32 v4, v4, v6
	v_add_f32_e32 v4, v4, v5
	v_exp_f32_e32 v4, v4
	v_cvt_i32_f32_e32 v5, v6
	v_cndmask_b32_e32 v2, 0, v2, vcc
	v_mov_b32_e32 v6, 0x7f800000
	v_cmp_nlt_f32_e32 vcc, s9, v1
	s_nop 1
	v_cndmask_b32_e32 v1, v6, v2, vcc
	v_ldexp_f32 v2, v4, v5
	v_cmp_ngt_f32_e32 vcc, s8, v3
	v_cvt_f16_f32_e32 v4, v1
	v_pk_mul_f16 v93, v4, v93 op_sel_hi:[0,1]
	v_cndmask_b32_e32 v2, 0, v2, vcc
	v_cmp_nlt_f32_e32 vcc, s9, v3
	v_pk_mul_f16 v92, v4, v92 op_sel_hi:[0,1]
	v_pk_mul_f16 v91, v4, v91 op_sel_hi:[0,1]
	v_cndmask_b32_e32 v2, v6, v2, vcc
	v_cmp_eq_u32_e32 vcc, 0, v64
	v_pk_mul_f16 v90, v4, v90 op_sel_hi:[0,1]
	v_pk_mul_f16 v89, v4, v89 op_sel_hi:[0,1]
	v_cndmask_b32_e32 v2, 0, v2, vcc
	v_fmac_f32_e32 v2, v69, v1
	v_pk_mul_f16 v87, v4, v87 op_sel_hi:[0,1]
	v_pk_mul_f16 v86, v4, v86 op_sel_hi:[0,1]
	;; [unrolled: 1-line block ×11, first 2 shown]
	v_mov_b32_e32 v69, v2
.LBB27_43:
	s_or_b64 exec, exec, s[4:5]
	s_and_saveexec_b64 s[4:5], s[14:15]
	s_cbranch_execz .LBB27_45
; %bb.44:
	v_mov_b32_e32 v0, 0xfeffffff
	v_mov_b32_e32 v1, 0
	v_add_u32_e32 v2, 0x2000, v68
	ds_write2_b32 v2, v0, v1 offset1:32
.LBB27_45:
	s_or_b64 exec, exec, s[4:5]
	v_cmp_eq_u32_e32 vcc, 0, v64
	v_lshlrev_b32_e32 v6, 2, v35
	s_waitcnt lgkmcnt(0)
	s_barrier
	s_and_saveexec_b64 s[4:5], vcc
	s_cbranch_execz .LBB27_47
; %bb.46:
	ds_write_b32 v6, v79 offset:8192
.LBB27_47:
	s_or_b64 exec, exec, s[4:5]
	v_mbcnt_hi_u32_b32 v2, -1, v65
	s_waitcnt lgkmcnt(0)
	s_barrier
	ds_read_b32 v0, v68 offset:8192
	v_and_b32_e32 v1, 0x60, v2
	v_add_u32_e32 v7, 32, v1
	v_xor_b32_e32 v1, 16, v2
	v_cmp_lt_i32_e64 s[4:5], v1, v7
	s_nop 1
	v_cndmask_b32_e64 v1, v2, v1, s[4:5]
	v_lshlrev_b32_e32 v3, 2, v1
	s_waitcnt lgkmcnt(0)
	ds_bpermute_b32 v1, v3, v0
	v_max_f32_e32 v0, v0, v0
	s_waitcnt lgkmcnt(0)
	v_max_f32_e32 v1, v1, v1
	v_max_f32_e32 v0, v0, v1
	v_xor_b32_e32 v1, 8, v2
	v_cmp_lt_i32_e64 s[4:5], v1, v7
	s_nop 1
	v_cndmask_b32_e64 v1, v2, v1, s[4:5]
	v_lshlrev_b32_e32 v4, 2, v1
	ds_bpermute_b32 v1, v4, v0
	s_waitcnt lgkmcnt(0)
	v_max_f32_e32 v1, v1, v1
	v_max_f32_e32 v0, v0, v1
	v_xor_b32_e32 v1, 4, v2
	v_cmp_lt_i32_e64 s[4:5], v1, v7
	s_nop 1
	v_cndmask_b32_e64 v1, v2, v1, s[4:5]
	v_lshlrev_b32_e32 v5, 2, v1
	ds_bpermute_b32 v1, v5, v0
	;; [unrolled: 9-line block ×4, first 2 shown]
	s_mov_b32 s4, 0x3fb8aa3b
	s_waitcnt lgkmcnt(0)
	v_max_f32_e32 v7, v7, v7
	v_max_f32_e32 v0, v0, v7
	v_sub_f32_e32 v7, v79, v0
	v_mul_f32_e32 v8, 0x3fb8aa3b, v7
	v_fma_f32 v9, v7, s4, -v8
	v_rndne_f32_e32 v10, v8
	v_fmamk_f32 v9, v7, 0x32a5705f, v9
	v_sub_f32_e32 v8, v8, v10
	v_add_f32_e32 v8, v8, v9
	v_exp_f32_e32 v8, v8
	v_cvt_i32_f32_e32 v9, v10
	s_mov_b32 s4, 0xc2ce8ed0
	v_cmp_ngt_f32_e64 s[4:5], s4, v7
	v_ldexp_f32 v8, v8, v9
	s_nop 0
	v_cndmask_b32_e64 v8, 0, v8, s[4:5]
	s_mov_b32 s4, 0x42b17218
	v_mov_b32_e32 v9, 0x7f800000
	v_cmp_nlt_f32_e64 s[4:5], s4, v7
	s_nop 1
	v_cndmask_b32_e64 v7, v9, v8, s[4:5]
	v_mul_f32_e32 v9, v69, v7
	ds_bpermute_b32 v9, v3, v9
	v_cvt_f16_f32_e32 v8, v7
	s_movk_i32 s4, 0x70
	s_waitcnt lgkmcnt(0)
	v_fmac_f32_e32 v9, v69, v7
	ds_bpermute_b32 v7, v4, v9
	v_pk_mul_f16 v10, v8, v93 op_sel_hi:[0,1]
	v_pk_mul_f16 v11, v8, v92 op_sel_hi:[0,1]
	;; [unrolled: 1-line block ×4, first 2 shown]
	s_waitcnt lgkmcnt(0)
	v_add_f32_e32 v7, v9, v7
	ds_bpermute_b32 v9, v5, v7
	v_pk_mul_f16 v18, v8, v89 op_sel_hi:[0,1]
	v_pk_mul_f16 v19, v8, v87 op_sel_hi:[0,1]
	;; [unrolled: 1-line block ×4, first 2 shown]
	s_waitcnt lgkmcnt(0)
	v_add_f32_e32 v7, v7, v9
	ds_bpermute_b32 v9, v1, v7
	v_pk_mul_f16 v22, v8, v84 op_sel_hi:[0,1]
	v_pk_mul_f16 v23, v8, v83 op_sel_hi:[0,1]
	;; [unrolled: 1-line block ×8, first 2 shown]
	v_lshlrev_b32_e32 v8, 6, v64
	v_and_b32_e32 v8, 0x1e00, v8
	v_lshl_add_u32 v8, v35, 11, v8
	s_waitcnt lgkmcnt(0)
	v_add_f32_e32 v7, v7, v9
	v_and_or_b32 v14, v16, s4, v8
	ds_bpermute_b32 v8, v2, v7
	ds_write_b128 v14, v[10:13]
	ds_write_b128 v14, v[18:21] offset:128
	ds_write_b128 v14, v[22:25] offset:256
	;; [unrolled: 1-line block ×3, first 2 shown]
	s_and_saveexec_b64 s[4:5], vcc
	s_cbranch_execz .LBB27_49
; %bb.48:
	s_waitcnt lgkmcnt(4)
	v_add_f32_e32 v7, v7, v8
	ds_write_b32 v6, v7 offset:8320
.LBB27_49:
	s_or_b64 exec, exec, s[4:5]
	s_waitcnt lgkmcnt(0)
	s_barrier
	ds_read_b32 v6, v68 offset:8320
	ds_read_u16 v7, v66
	ds_read_u16 v8, v66 offset:1280
	ds_read_u16 v9, v66 offset:768
	;; [unrolled: 1-line block ×3, first 2 shown]
	s_waitcnt lgkmcnt(4)
	ds_bpermute_b32 v3, v3, v6
	ds_read_u16 v11, v66 offset:512
	ds_read_u16 v12, v66 offset:1024
	;; [unrolled: 1-line block ×3, first 2 shown]
	s_load_dword s6, s[0:1], 0xd4
	s_waitcnt lgkmcnt(0)
	v_cvt_f32_f16_e32 v9, v9
	v_add_f32_e32 v3, v6, v3
	ds_bpermute_b32 v6, v4, v3
	v_cvt_f32_f16_e32 v8, v8
	s_cmp_eq_u32 s6, 1
	s_mul_i32 s4, s33, s34
	v_mov_b32_e32 v4, s28
	s_waitcnt lgkmcnt(0)
	v_add_f32_e32 v3, v3, v6
	ds_bpermute_b32 v5, v5, v3
	ds_read_u16 v6, v66 offset:2048
	ds_read_u16 v14, v66 offset:2560
	;; [unrolled: 1-line block ×4, first 2 shown]
	s_waitcnt lgkmcnt(4)
	v_add_f32_e32 v3, v3, v5
	ds_bpermute_b32 v1, v1, v3
	v_cvt_f32_f16_e32 v5, v7
	v_cvt_f32_f16_e32 v7, v11
	;; [unrolled: 1-line block ×4, first 2 shown]
	s_waitcnt lgkmcnt(0)
	v_add_f32_e32 v1, v3, v1
	ds_bpermute_b32 v2, v2, v1
	v_add_f32_e32 v3, 0, v5
	v_add_f32_e32 v3, v3, v7
	v_add_f32_e32 v3, v3, v11
	v_add_f32_e32 v3, v3, v12
	s_waitcnt lgkmcnt(0)
	v_add_f32_e32 v1, v1, v2
	ds_read_u16 v2, v66 offset:3072
	ds_read_u16 v7, v66 offset:2816
	;; [unrolled: 1-line block ×4, first 2 shown]
	v_cvt_f32_f16_e32 v5, v6
	v_cvt_f32_f16_e32 v6, v14
	s_waitcnt lgkmcnt(3)
	v_cvt_f32_f16_e32 v2, v2
	v_cvt_f32_f16_e32 v13, v15
	v_add_f32_e32 v3, v3, v5
	v_add_f32_e32 v3, v3, v6
	v_add_f32_e32 v2, v3, v2
	v_add_f32_e32 v2, v2, v13
	ds_read_u16 v3, v66 offset:4096
	ds_read_u16 v5, v66 offset:4608
	;; [unrolled: 1-line block ×8, first 2 shown]
	s_waitcnt lgkmcnt(7)
	v_cvt_f32_f16_e32 v3, v3
	s_waitcnt lgkmcnt(6)
	v_cvt_f32_f16_e32 v5, v5
	;; [unrolled: 2-line block ×3, first 2 shown]
	v_cvt_f32_f16_e32 v6, v6
	v_add_f32_e32 v2, v2, v3
	v_add_f32_e32 v2, v2, v5
	;; [unrolled: 1-line block ×4, first 2 shown]
	ds_read_u16 v3, v66 offset:6144
	ds_read_u16 v5, v66 offset:6656
	;; [unrolled: 1-line block ×8, first 2 shown]
	s_waitcnt lgkmcnt(7)
	v_cvt_f32_f16_e32 v3, v3
	s_waitcnt lgkmcnt(6)
	v_cvt_f32_f16_e32 v5, v5
	;; [unrolled: 2-line block ×3, first 2 shown]
	v_cvt_f32_f16_e32 v6, v6
	v_add_f32_e32 v2, v2, v3
	v_add_f32_e32 v2, v2, v5
	;; [unrolled: 1-line block ×4, first 2 shown]
	v_div_scale_f32 v3, s[0:1], v1, v1, v2
	v_rcp_f32_e32 v6, v3
	s_cselect_b64 s[0:1], -1, 0
	v_cvt_f32_f16_e32 v7, v7
	s_add_i32 s2, s4, s2
	v_fma_f32 v20, -v3, v6, 1.0
	v_fmac_f32_e32 v6, v20, v6
	v_div_scale_f32 v20, vcc, v2, v1, v2
	v_mul_f32_e32 v24, v20, v6
	v_fma_f32 v25, -v3, v24, v20
	v_fmac_f32_e32 v24, v25, v6
	v_fma_f32 v3, -v3, v24, v20
	v_div_fmas_f32 v3, v3, v6, v24
	v_div_fixup_f32 v3, v3, v1, v2
	v_cndmask_b32_e64 v6, v2, v3, s[0:1]
	v_cvt_f32_f16_e32 v3, v10
	v_cvt_f32_f16_e32 v10, v12
	s_mul_i32 s2, s2, s35
	s_add_i32 s2, s2, s40
	v_add_f32_e32 v3, 0, v3
	v_add_f32_e32 v3, v3, v9
	;; [unrolled: 1-line block ×3, first 2 shown]
	v_cvt_f32_f16_e32 v8, v11
	v_add_f32_e32 v3, v3, v10
	v_cvt_f32_f16_e32 v9, v16
	v_cvt_f32_f16_e32 v10, v14
	v_add_f32_e32 v3, v3, v8
	v_cvt_f32_f16_e32 v8, v19
	v_add_f32_e32 v3, v3, v7
	;; [unrolled: 2-line block ×3, first 2 shown]
	v_add_f32_e32 v3, v3, v8
	v_cvt_f32_f16_e32 v8, v15
	v_cvt_f32_f16_e32 v9, v13
	v_add_f32_e32 v3, v3, v7
	s_waitcnt lgkmcnt(0)
	v_cvt_f32_f16_e32 v7, v23
	v_add_f32_e32 v3, v3, v8
	ds_read_u16 v8, v66 offset:7936
	v_add_f32_e32 v3, v3, v9
	v_add_f32_e32 v3, v3, v7
	v_cvt_f32_f16_e32 v7, v22
	v_cvt_f32_f16_e32 v9, v21
	s_waitcnt lgkmcnt(0)
	v_cvt_f32_f16_e32 v8, v8
	s_mul_i32 s2, s6, s2
	v_add_f32_e32 v3, v3, v7
	v_add_f32_e32 v3, v3, v9
	;; [unrolled: 1-line block ×4, first 2 shown]
	v_div_scale_f32 v8, s[4:5], v1, v1, v7
	v_rcp_f32_e32 v9, v8
	s_add_i32 s2, s2, s3
	v_mov_b32_e32 v5, s29
	v_lshl_or_b32 v2, s2, 8, v17
	v_mov_b32_e32 v3, 0
	v_lshl_add_u64 v[4:5], v[2:3], 2, v[4:5]
	v_fma_f32 v2, -v8, v9, 1.0
	v_fmac_f32_e32 v9, v2, v9
	v_div_scale_f32 v2, vcc, v7, v1, v7
	global_store_dword v[4:5], v6, off
	v_mul_f32_e32 v6, v2, v9
	v_fma_f32 v10, -v8, v6, v2
	v_fmac_f32_e32 v6, v10, v9
	v_fma_f32 v2, -v8, v6, v2
	v_div_fmas_f32 v2, v2, v9, v6
	v_div_fixup_f32 v2, v2, v1, v7
	s_cmp_lg_u32 s6, 1
	v_cndmask_b32_e64 v2, v7, v2, s[0:1]
	s_cselect_b64 s[0:1], -1, 0
	v_cmp_eq_u32_e32 vcc, 0, v17
	s_and_b64 s[0:1], vcc, s[0:1]
	global_store_dword v[4:5], v2, off offset:512
	s_and_saveexec_b64 s[4:5], s[0:1]
	s_cbranch_execz .LBB27_51
; %bb.50:
	s_mov_b32 s3, 0
	s_lshl_b64 s[0:1], s[2:3], 3
	s_add_u32 s0, s30, s0
	s_addc_u32 s1, s31, s1
	global_store_dwordx2 v3, v[0:1], s[0:1]
.LBB27_51:
	s_endpgm
	.section	.rodata,"a",@progbits
	.p2align	6, 0x0
	.amdhsa_kernel _ZL18flash_attn_ext_vecILi256ELi1EL9ggml_type2ELS0_30ELb1EEvPKcS2_S2_S2_S2_PKiPfP15HIP_vector_typeIfLj2EEffffjfiS6_IjLj3EEiiiiiiiiiiiliiliiiiil
		.amdhsa_group_segment_fixed_size 8448
		.amdhsa_private_segment_fixed_size 0
		.amdhsa_kernarg_size 464
		.amdhsa_user_sgpr_count 2
		.amdhsa_user_sgpr_dispatch_ptr 0
		.amdhsa_user_sgpr_queue_ptr 0
		.amdhsa_user_sgpr_kernarg_segment_ptr 1
		.amdhsa_user_sgpr_dispatch_id 0
		.amdhsa_user_sgpr_kernarg_preload_length 0
		.amdhsa_user_sgpr_kernarg_preload_offset 0
		.amdhsa_user_sgpr_private_segment_size 0
		.amdhsa_uses_dynamic_stack 0
		.amdhsa_enable_private_segment 0
		.amdhsa_system_sgpr_workgroup_id_x 1
		.amdhsa_system_sgpr_workgroup_id_y 1
		.amdhsa_system_sgpr_workgroup_id_z 1
		.amdhsa_system_sgpr_workgroup_info 0
		.amdhsa_system_vgpr_workitem_id 1
		.amdhsa_next_free_vgpr 115
		.amdhsa_next_free_sgpr 56
		.amdhsa_accum_offset 116
		.amdhsa_reserve_vcc 1
		.amdhsa_float_round_mode_32 0
		.amdhsa_float_round_mode_16_64 0
		.amdhsa_float_denorm_mode_32 3
		.amdhsa_float_denorm_mode_16_64 3
		.amdhsa_dx10_clamp 1
		.amdhsa_ieee_mode 1
		.amdhsa_fp16_overflow 0
		.amdhsa_tg_split 0
		.amdhsa_exception_fp_ieee_invalid_op 0
		.amdhsa_exception_fp_denorm_src 0
		.amdhsa_exception_fp_ieee_div_zero 0
		.amdhsa_exception_fp_ieee_overflow 0
		.amdhsa_exception_fp_ieee_underflow 0
		.amdhsa_exception_fp_ieee_inexact 0
		.amdhsa_exception_int_div_zero 0
	.end_amdhsa_kernel
	.section	.text._ZL18flash_attn_ext_vecILi256ELi1EL9ggml_type2ELS0_30ELb1EEvPKcS2_S2_S2_S2_PKiPfP15HIP_vector_typeIfLj2EEffffjfiS6_IjLj3EEiiiiiiiiiiiliiliiiiil,"axG",@progbits,_ZL18flash_attn_ext_vecILi256ELi1EL9ggml_type2ELS0_30ELb1EEvPKcS2_S2_S2_S2_PKiPfP15HIP_vector_typeIfLj2EEffffjfiS6_IjLj3EEiiiiiiiiiiiliiliiiiil,comdat
.Lfunc_end27:
	.size	_ZL18flash_attn_ext_vecILi256ELi1EL9ggml_type2ELS0_30ELb1EEvPKcS2_S2_S2_S2_PKiPfP15HIP_vector_typeIfLj2EEffffjfiS6_IjLj3EEiiiiiiiiiiiliiliiiiil, .Lfunc_end27-_ZL18flash_attn_ext_vecILi256ELi1EL9ggml_type2ELS0_30ELb1EEvPKcS2_S2_S2_S2_PKiPfP15HIP_vector_typeIfLj2EEffffjfiS6_IjLj3EEiiiiiiiiiiiliiliiiiil
                                        ; -- End function
	.section	.AMDGPU.csdata,"",@progbits
; Kernel info:
; codeLenInByte = 16740
; NumSgprs: 62
; NumVgprs: 115
; NumAgprs: 0
; TotalNumVgprs: 115
; ScratchSize: 0
; MemoryBound: 0
; FloatMode: 240
; IeeeMode: 1
; LDSByteSize: 8448 bytes/workgroup (compile time only)
; SGPRBlocks: 7
; VGPRBlocks: 14
; NumSGPRsForWavesPerEU: 62
; NumVGPRsForWavesPerEU: 115
; AccumOffset: 116
; Occupancy: 4
; WaveLimiterHint : 1
; COMPUTE_PGM_RSRC2:SCRATCH_EN: 0
; COMPUTE_PGM_RSRC2:USER_SGPR: 2
; COMPUTE_PGM_RSRC2:TRAP_HANDLER: 0
; COMPUTE_PGM_RSRC2:TGID_X_EN: 1
; COMPUTE_PGM_RSRC2:TGID_Y_EN: 1
; COMPUTE_PGM_RSRC2:TGID_Z_EN: 1
; COMPUTE_PGM_RSRC2:TIDIG_COMP_CNT: 1
; COMPUTE_PGM_RSRC3_GFX90A:ACCUM_OFFSET: 28
; COMPUTE_PGM_RSRC3_GFX90A:TG_SPLIT: 0
	.section	.text._ZL18flash_attn_ext_vecILi256ELi2EL9ggml_type2ELS0_30ELb0EEvPKcS2_S2_S2_S2_PKiPfP15HIP_vector_typeIfLj2EEffffjfiS6_IjLj3EEiiiiiiiiiiiliiliiiiil,"axG",@progbits,_ZL18flash_attn_ext_vecILi256ELi2EL9ggml_type2ELS0_30ELb0EEvPKcS2_S2_S2_S2_PKiPfP15HIP_vector_typeIfLj2EEffffjfiS6_IjLj3EEiiiiiiiiiiiliiliiiiil,comdat
	.globl	_ZL18flash_attn_ext_vecILi256ELi2EL9ggml_type2ELS0_30ELb0EEvPKcS2_S2_S2_S2_PKiPfP15HIP_vector_typeIfLj2EEffffjfiS6_IjLj3EEiiiiiiiiiiiliiliiiiil ; -- Begin function _ZL18flash_attn_ext_vecILi256ELi2EL9ggml_type2ELS0_30ELb0EEvPKcS2_S2_S2_S2_PKiPfP15HIP_vector_typeIfLj2EEffffjfiS6_IjLj3EEiiiiiiiiiiiliiliiiiil
	.p2align	8
	.type	_ZL18flash_attn_ext_vecILi256ELi2EL9ggml_type2ELS0_30ELb0EEvPKcS2_S2_S2_S2_PKiPfP15HIP_vector_typeIfLj2EEffffjfiS6_IjLj3EEiiiiiiiiiiiliiliiiiil,@function
_ZL18flash_attn_ext_vecILi256ELi2EL9ggml_type2ELS0_30ELb0EEvPKcS2_S2_S2_S2_PKiPfP15HIP_vector_typeIfLj2EEffffjfiS6_IjLj3EEiiiiiiiiiiiliiliiiiil: ; @_ZL18flash_attn_ext_vecILi256ELi2EL9ggml_type2ELS0_30ELb0EEvPKcS2_S2_S2_S2_PKiPfP15HIP_vector_typeIfLj2EEffffjfiS6_IjLj3EEiiiiiiiiiiiliiliiiiil
; %bb.0:
	s_load_dwordx2 s[18:19], s[0:1], 0x64
	s_load_dwordx2 s[52:53], s[0:1], 0x80
	;; [unrolled: 1-line block ×3, first 2 shown]
	s_load_dwordx4 s[12:15], s[0:1], 0x40
	v_mov_b32_e32 v149, 1.0
	s_waitcnt lgkmcnt(0)
	v_cvt_f32_u32_e32 v1, s19
	s_sub_i32 s5, 0, s19
	v_rcp_iflag_f32_e32 v1, v1
	s_nop 0
	v_mul_f32_e32 v1, 0x4f7ffffe, v1
	v_cvt_u32_f32_e32 v1, v1
	s_nop 0
	v_readfirstlane_b32 s6, v1
	s_mul_i32 s5, s5, s6
	s_mul_hi_u32 s5, s6, s5
	s_add_i32 s6, s6, s5
	s_mul_hi_u32 s5, s4, s6
	s_mul_i32 s6, s5, s19
	s_sub_i32 s6, s4, s6
	s_add_i32 s7, s5, 1
	s_sub_i32 s8, s6, s19
	s_cmp_ge_u32 s6, s19
	s_cselect_b32 s5, s7, s5
	s_cselect_b32 s6, s8, s6
	s_add_i32 s7, s5, 1
	s_cmp_ge_u32 s6, s19
	s_cselect_b32 s54, s7, s5
	s_abs_i32 s5, s53
	v_cvt_f32_u32_e32 v1, s5
	s_mul_i32 s8, s54, s19
	s_sub_i32 s9, 0, s5
	s_sub_i32 s20, s4, s8
	v_rcp_iflag_f32_e32 v1, v1
	s_abs_i32 s7, s19
	s_xor_b32 s6, s19, s53
	s_ashr_i32 s6, s6, 31
	v_mul_f32_e32 v1, 0x4f7ffffe, v1
	v_cvt_u32_f32_e32 v1, v1
	s_nop 0
	v_readfirstlane_b32 s4, v1
	s_mul_i32 s9, s9, s4
	s_mul_hi_u32 s8, s4, s9
	s_add_i32 s4, s4, s8
	s_mul_hi_u32 s4, s7, s4
	s_mul_i32 s8, s4, s5
	s_sub_i32 s7, s7, s8
	s_add_i32 s9, s4, 1
	s_sub_i32 s8, s7, s5
	s_cmp_ge_u32 s7, s5
	s_cselect_b32 s4, s9, s4
	s_cselect_b32 s7, s8, s7
	s_add_i32 s8, s4, 1
	s_cmp_ge_u32 s7, s5
	s_cselect_b32 s4, s8, s4
	s_xor_b32 s4, s4, s6
	s_sub_i32 s27, s4, s6
	s_load_dword s4, s[0:1], 0x50
	s_abs_i32 s10, s10
	s_abs_i32 s26, s27
	v_cvt_f32_u32_e32 v1, s10
	v_cvt_f32_u32_e32 v2, s26
	v_cmp_le_f32_e64 s[6:7], s13, 0
	s_mov_b32 s22, s12
	v_rcp_iflag_f32_e32 v1, v1
	v_rcp_iflag_f32_e32 v2, v2
	s_mov_b32 s23, s13
	s_and_b64 vcc, exec, s[6:7]
	v_mul_f32_e32 v1, 0x4f7ffffe, v1
	v_mul_f32_e32 v2, 0x4f7ffffe, v2
	v_cvt_u32_f32_e32 v1, v1
	v_cvt_u32_f32_e32 v2, v2
	v_readfirstlane_b32 s28, v1
	v_readfirstlane_b32 s29, v2
	s_cbranch_vccnz .LBB28_2
; %bb.1:
	s_waitcnt lgkmcnt(0)
	s_sub_i32 s5, s20, s4
	s_lshl_b32 s5, s5, 1
	s_add_i32 s6, s20, 1
	s_or_b32 s7, s5, 1
	s_cmp_lt_u32 s20, s4
	s_cselect_b64 vcc, -1, 0
	s_and_b64 s[4:5], vcc, exec
	v_mov_b32_e32 v1, s15
	v_mov_b32_e32 v2, s14
	s_cselect_b32 s4, s6, s7
	v_cndmask_b32_e32 v18, v1, v2, vcc
	v_cvt_f32_i32_e32 v1, s4
	v_cmp_neq_f32_e32 vcc, 1.0, v18
	s_mov_b32 s4, 0x3f2aaaab
	s_movk_i32 s6, 0x204
	v_cndmask_b32_e32 v19, 1.0, v1, vcc
	v_cmp_eq_f32_e32 vcc, 0, v19
	s_mov_b32 s8, 0x42b17218
	s_mov_b32 s7, 0x7f800000
	v_cndmask_b32_e64 v20, |v18|, 1.0, vcc
	v_frexp_mant_f32_e32 v1, v20
	v_cmp_gt_f32_e64 s[4:5], s4, v1
	s_brev_b32 s13, -2
	s_nop 0
	v_cndmask_b32_e64 v2, 1.0, 2.0, s[4:5]
	v_mul_f32_e32 v1, v1, v2
	v_add_f32_e32 v2, 1.0, v1
	v_rcp_f32_e32 v10, v2
	v_add_f32_e32 v3, -1.0, v2
	v_sub_f32_e32 v5, v1, v3
	v_add_f32_e32 v3, -1.0, v1
	v_mul_f32_e32 v1, v3, v10
	v_mul_f32_e32 v4, v2, v1
	v_fma_f32 v6, v1, v2, -v4
	v_fmac_f32_e32 v6, v1, v5
	v_add_f32_e32 v2, v4, v6
	v_sub_f32_e32 v5, v3, v2
	v_pk_add_f32 v[8:9], v[2:3], v[4:5] neg_lo:[0,1] neg_hi:[0,1]
	v_mov_b32_e32 v7, v2
	v_pk_add_f32 v[2:3], v[8:9], v[6:7] neg_lo:[0,1] neg_hi:[0,1]
	v_mov_b32_e32 v6, 0x3e91f4c4
	v_add_f32_e32 v2, v2, v3
	v_add_f32_e32 v2, v5, v2
	v_mul_f32_e32 v3, v10, v2
	v_add_f32_e32 v2, v1, v3
	v_sub_f32_e32 v1, v2, v1
	v_sub_f32_e32 v1, v3, v1
	v_mul_f32_e32 v3, v2, v2
	v_fma_f32 v5, v2, v2, -v3
	v_add_f32_e32 v4, v1, v1
	v_fmac_f32_e32 v5, v2, v4
	v_add_f32_e32 v4, v3, v5
	v_fmac_f32_e32 v6, 0x3e76c4e1, v4
	v_fmaak_f32 v6, v4, v6, 0x3ecccdef
	v_sub_f32_e32 v3, v4, v3
	v_sub_f32_e32 v12, v5, v3
	v_mul_f32_e32 v3, v4, v6
	v_fma_f32 v5, v4, v6, -v3
	v_fmac_f32_e32 v5, v12, v6
	v_add_f32_e32 v6, v3, v5
	v_add_f32_e32 v7, 0x3f2aaaaa, v6
	v_sub_f32_e32 v3, v6, v3
	v_sub_f32_e32 v3, v5, v3
	v_add_f32_e32 v5, 0xbf2aaaaa, v7
	v_add_f32_e32 v3, 0x31739010, v3
	v_sub_f32_e32 v5, v6, v5
	v_pk_mul_f32 v[8:9], v[2:3], v[4:5]
	v_pk_add_f32 v[10:11], v[2:3], v[4:5]
	v_fma_f32 v6, v4, v2, -v8
	v_fmac_f32_e32 v6, v4, v1
	v_mov_b32_e32 v9, v11
	v_fmac_f32_e32 v6, v12, v2
	v_pk_add_f32 v[4:5], v[8:9], v[6:7]
	v_ldexp_f32 v1, v1, 1
	v_sub_f32_e32 v3, v4, v8
	v_sub_f32_e32 v3, v6, v3
	;; [unrolled: 1-line block ×3, first 2 shown]
	v_add_f32_e32 v9, v11, v6
	v_mov_b32_e32 v6, v5
	v_pk_mul_f32 v[6:7], v[4:5], v[6:7]
	v_cvt_f64_f32_e32 v[10:11], v20
	v_frexp_exp_i32_f64_e32 v7, v[10:11]
	v_subbrev_co_u32_e64 v7, s[4:5], 0, v7, s[4:5]
	v_cvt_f32_i32_e32 v7, v7
	v_fma_f32 v8, v4, v5, -v6
	v_fmac_f32_e32 v8, v4, v9
	s_mov_b32 s4, 0x3f317218
	v_mul_f32_e32 v4, 0x3f317218, v7
	v_fmac_f32_e32 v8, v3, v5
	v_fma_f32 v3, v7, s4, -v4
	v_fmamk_f32 v10, v7, 0xb102e308, v3
	v_ldexp_f32 v11, v2, 1
	v_add_f32_e32 v5, v6, v8
	v_pk_add_f32 v[2:3], v[4:5], v[10:11]
	v_mov_b32_e32 v12, v5
	v_mov_b32_e32 v13, v3
	;; [unrolled: 1-line block ×3, first 2 shown]
	v_pk_add_f32 v[6:7], v[12:13], v[6:7] neg_lo:[0,1] neg_hi:[0,1]
	v_mov_b32_e32 v9, v5
	v_pk_add_f32 v[6:7], v[8:9], v[6:7] neg_lo:[0,1] neg_hi:[0,1]
	v_mov_b32_e32 v11, v2
	v_add_f32_e32 v1, v1, v6
	v_add_f32_e32 v5, v1, v7
	v_pk_add_f32 v[6:7], v[2:3], v[4:5] neg_lo:[0,1] neg_hi:[0,1]
	v_pk_add_f32 v[8:9], v[2:3], v[4:5]
	v_mov_b32_e32 v12, v6
	v_mov_b32_e32 v13, v9
	v_pk_add_f32 v[12:13], v[10:11], v[12:13]
	v_pk_add_f32 v[6:7], v[10:11], v[6:7] neg_lo:[0,1] neg_hi:[0,1]
	v_mov_b32_e32 v4, v13
	v_pk_add_f32 v[14:15], v[4:5], v[2:3] neg_lo:[0,1] neg_hi:[0,1]
	v_mov_b32_e32 v12, v9
	v_mov_b32_e32 v1, v14
	;; [unrolled: 1-line block ×4, first 2 shown]
	v_pk_add_f32 v[16:17], v[8:9], v[0:1] neg_lo:[0,1] neg_hi:[0,1]
	v_pk_add_f32 v[2:3], v[12:13], v[2:3] neg_lo:[0,1] neg_hi:[0,1]
	v_mov_b32_e32 v10, v5
	v_pk_add_f32 v[2:3], v[10:11], v[2:3] neg_lo:[0,1] neg_hi:[0,1]
	v_mov_b32_e32 v16, v6
	v_pk_add_f32 v[8:9], v[16:17], v[2:3]
	v_mov_b32_e32 v7, v13
	v_mov_b32_e32 v10, v9
	v_pk_add_f32 v[10:11], v[8:9], v[10:11]
	s_nop 0
	v_pk_add_f32 v[4:5], v[4:5], v[10:11]
	v_mov_b32_e32 v3, v10
	v_mov_b32_e32 v9, v4
	v_pk_add_f32 v[12:13], v[8:9], v[6:7] neg_lo:[0,1] neg_hi:[0,1]
	s_nop 0
	v_sub_f32_e32 v1, v8, v12
	v_pk_add_f32 v[2:3], v[2:3], v[12:13] neg_lo:[0,1] neg_hi:[0,1]
	v_sub_f32_e32 v1, v6, v1
	v_add_f32_e32 v1, v2, v1
	v_add_f32_e32 v1, v1, v3
	;; [unrolled: 1-line block ×3, first 2 shown]
	v_sub_f32_e32 v3, v2, v4
	v_sub_f32_e32 v1, v1, v3
	v_mul_f32_e32 v3, v19, v2
	v_fma_f32 v2, v19, v2, -v3
	v_fmac_f32_e32 v2, v19, v1
	v_add_f32_e32 v1, v3, v2
	v_cmp_class_f32_e64 s[4:5], v3, s6
	v_sub_f32_e32 v4, v1, v3
	v_sub_f32_e32 v2, v2, v4
	v_cndmask_b32_e64 v1, v1, v3, s[4:5]
	v_mov_b32_e32 v3, 0x37000000
	v_cmp_eq_f32_e64 s[4:5], s8, v1
	s_nop 1
	v_cndmask_b32_e64 v3, 0, v3, s[4:5]
	v_sub_f32_e32 v4, v1, v3
	s_mov_b32 s4, 0x3fb8aa3b
	v_mul_f32_e32 v5, 0x3fb8aa3b, v4
	v_fma_f32 v6, v4, s4, -v5
	v_rndne_f32_e32 v7, v5
	v_fmamk_f32 v6, v4, 0x32a5705f, v6
	v_sub_f32_e32 v5, v5, v7
	v_add_f32_e32 v5, v5, v6
	v_exp_f32_e32 v5, v5
	v_cvt_i32_f32_e32 v6, v7
	v_cmp_neq_f32_e64 s[4:5], |v1|, s7
	s_nop 1
	v_cndmask_b32_e64 v1, 0, v2, s[4:5]
	s_mov_b32 s4, 0xc2ce8ed0
	v_ldexp_f32 v2, v5, v6
	v_cmp_ngt_f32_e64 s[4:5], s4, v4
	v_add_f32_e32 v1, v3, v1
	v_mov_b32_e32 v3, 0x7f800000
	v_cndmask_b32_e64 v2, 0, v2, s[4:5]
	v_cmp_nlt_f32_e64 s[4:5], s8, v4
	v_trunc_f32_e32 v4, v19
	v_mov_b32_e32 v5, 0x7fc00000
	v_cndmask_b32_e64 v2, v3, v2, s[4:5]
	v_fma_f32 v1, v2, v1, v2
	v_cmp_class_f32_e64 s[4:5], v2, s6
	v_cmp_gt_f32_e64 s[8:9], 0, v19
	s_nop 0
	v_cndmask_b32_e64 v1, v1, v2, s[4:5]
	v_cndmask_b32_e64 v2, v18, 1.0, vcc
	v_cmp_eq_f32_e32 vcc, v4, v19
	v_mul_f32_e32 v4, 0.5, v19
	v_trunc_f32_e32 v6, v4
	v_cmp_neq_f32_e64 s[4:5], v6, v4
	s_and_b64 s[4:5], vcc, s[4:5]
	s_nop 0
	v_cndmask_b32_e64 v4, 1.0, v2, s[4:5]
	v_bfi_b32 v1, s13, v1, v4
	v_cndmask_b32_e32 v4, v5, v1, vcc
	v_cmp_gt_f32_e32 vcc, 0, v2
	s_nop 1
	v_cndmask_b32_e32 v1, v1, v4, vcc
	v_cmp_eq_f32_e32 vcc, s7, v20
	v_cmp_eq_f32_e64 s[6:7], 0, v2
	s_xor_b64 s[8:9], s[8:9], s[6:7]
	v_cndmask_b32_e64 v3, v3, 0, s[8:9]
	v_cndmask_b32_e64 v4, 0, v2, s[4:5]
	v_bfi_b32 v3, s13, v3, v4
	s_or_b64 vcc, vcc, s[6:7]
	v_cndmask_b32_e32 v1, v1, v3, vcc
	v_cmp_o_f32_e32 vcc, v2, v2
	s_nop 1
	v_cndmask_b32_e32 v149, v5, v1, vcc
.LBB28_2:
	s_load_dwordx16 s[36:51], s[0:1], 0x0
	s_waitcnt lgkmcnt(0)
	s_mov_b32 s4, 0
	s_mov_b32 s5, s4
	v_bfe_u32 v145, v0, 10, 10
	v_and_b32_e32 v144, 0x3ff, v0
	v_mov_b32_e32 v28, 0
	s_mov_b32 s6, s4
	s_mov_b32 s7, s4
	v_mov_b64_e32 v[0:1], s[4:5]
	s_lshl_b32 s33, s2, 1
	v_mov_b64_e32 v[2:3], s[6:7]
	v_mov_b32_e32 v29, v28
	v_mov_b32_e32 v30, v28
	v_cmp_lt_u32_e64 s[16:17], 1, v145
	v_cmp_gt_u32_e32 vcc, 2, v145
	scratch_store_dword off, v28, off
	scratch_store_dwordx4 off, v[0:3], off offset:4
	scratch_store_dwordx4 off, v[0:3], off offset:20
	;; [unrolled: 1-line block ×7, first 2 shown]
	scratch_store_dwordx3 off, v[28:30], off offset:116
	s_and_saveexec_b64 s[6:7], vcc
	s_cbranch_execz .LBB28_17
; %bb.3:
	v_lshlrev_b32_e32 v5, 9, v145
	v_or_b32_e32 v0, s33, v145
	v_cmp_le_i32_e32 vcc, s18, v0
	v_lshl_add_u32 v6, v144, 2, v5
	s_and_saveexec_b64 s[4:5], vcc
	s_xor_b64 s[4:5], exec, s[4:5]
	s_cbranch_execz .LBB28_7
; %bb.4:
	v_mov_b32_e32 v0, 0
	v_cmp_gt_u32_e32 vcc, 8, v144
	ds_write2_b32 v6, v0, v0 offset1:32
	s_and_saveexec_b64 s[8:9], vcc
	s_cbranch_execz .LBB28_6
; %bb.5:
	v_lshl_add_u32 v2, v144, 2, v6
	v_mov_b32_e32 v1, v0
	ds_write_b64 v2, v[0:1] offset:256
.LBB28_6:
	s_or_b64 exec, exec, s[8:9]
                                        ; implicit-def: $vgpr6
                                        ; implicit-def: $vgpr5
.LBB28_7:
	s_andn2_saveexec_b64 s[4:5], s[4:5]
	s_cbranch_execz .LBB28_17
; %bb.8:
	s_load_dwordx4 s[56:59], s[0:1], 0x70
	v_lshlrev_b32_e32 v2, 4, v144
	v_mov_b32_e32 v3, 0
	s_mov_b32 s13, s12
	s_waitcnt lgkmcnt(0)
	s_mul_i32 s4, s54, s58
	s_mul_i32 s8, s33, s56
	;; [unrolled: 1-line block ×3, first 2 shown]
	s_add_i32 s4, s4, s8
	s_add_i32 s4, s4, s5
	s_ashr_i32 s5, s4, 31
	v_mul_lo_u32 v0, v145, s56
	s_add_u32 s4, s36, s4
	v_ashrrev_i32_e32 v1, 31, v0
	s_addc_u32 s5, s37, s5
	v_lshl_add_u64 v[0:1], s[4:5], 0, v[0:1]
	v_lshl_add_u64 v[0:1], v[0:1], 0, v[2:3]
	global_load_dwordx4 v[14:17], v[0:1], off
	v_mbcnt_lo_u32_b32 v2, -1, 0
	v_mbcnt_hi_u32_b32 v4, -1, v2
	v_and_b32_e32 v2, 0x60, v4
	v_xor_b32_e32 v3, 4, v4
	v_add_u32_e32 v11, 32, v2
	v_xor_b32_e32 v7, 2, v4
	v_cmp_lt_i32_e32 vcc, v3, v11
	v_xor_b32_e32 v9, 1, v4
	s_mov_b32 s8, 0x42fe0000
	v_cndmask_b32_e32 v2, v4, v3, vcc
	v_cmp_lt_i32_e32 vcc, v7, v11
	v_lshlrev_b32_e32 v8, 2, v2
	s_waitcnt vmcnt(0)
	v_mul_f32_e32 v13, s12, v14
	v_cndmask_b32_e32 v3, v4, v7, vcc
	v_mov_b32_e32 v14, v17
	v_lshlrev_b32_e32 v7, 2, v3
	v_pk_mul_f32 v[2:3], v[14:15], s[22:23] op_sel_hi:[1,0]
	v_max_f32_e64 v12, |v13|, |v13|
	v_mul_f32_e32 v10, s12, v16
	v_max_f32_e64 v12, v12, |v3|
	v_max3_f32 v12, v12, |v10|, |v2|
	ds_bpermute_b32 v14, v8, v12
	v_add_f32_e32 v15, v3, v13
	v_fmac_f32_e32 v15, s12, v16
	v_add_f32_e32 v15, v2, v15
	ds_bpermute_b32 v16, v8, v15
	s_waitcnt lgkmcnt(1)
	v_max_f32_e32 v14, v14, v14
	v_max_f32_e32 v12, v12, v14
	ds_bpermute_b32 v14, v7, v12
	v_cmp_lt_i32_e32 vcc, v9, v11
	s_waitcnt lgkmcnt(0)
	v_max_f32_e32 v14, v14, v14
	v_cndmask_b32_e32 v4, v4, v9, vcc
	v_lshlrev_b32_e32 v9, 2, v4
	v_add_f32_e32 v4, v15, v16
	v_max_f32_e32 v12, v12, v14
	ds_bpermute_b32 v11, v7, v4
	ds_bpermute_b32 v15, v9, v12
	v_mov_b32_e32 v14, 0
	s_waitcnt lgkmcnt(1)
	v_add_f32_e32 v11, v4, v11
	s_waitcnt lgkmcnt(0)
	v_max_f32_e32 v4, v15, v15
	v_max_f32_e32 v4, v12, v4
	v_div_scale_f32 v15, s[4:5], s8, s8, v4
	v_rcp_f32_e32 v16, v15
	v_div_scale_f32 v17, vcc, v4, s8, v4
	ds_bpermute_b32 v12, v9, v11
	v_fma_f32 v18, -v15, v16, 1.0
	v_fmac_f32_e32 v16, v18, v16
	v_mul_f32_e32 v18, v17, v16
	v_fma_f32 v19, -v15, v18, v17
	v_fmac_f32_e32 v18, v19, v16
	v_fma_f32 v15, -v15, v18, v17
	v_div_fmas_f32 v15, v15, v16, v18
	v_div_fixup_f32 v4, v15, s8, v4
	v_cmp_neq_f32_e32 vcc, 0, v4
	s_and_saveexec_b64 s[4:5], vcc
	s_cbranch_execz .LBB28_10
; %bb.9:
	v_div_scale_f32 v14, s[8:9], v4, v4, v13
	v_rcp_f32_e32 v15, v14
	v_div_scale_f32 v16, vcc, v13, v4, v13
	s_brev_b32 s14, -2
	v_fma_f32 v17, -v14, v15, 1.0
	v_fmac_f32_e32 v15, v17, v15
	v_mul_f32_e32 v17, v16, v15
	v_fma_f32 v18, -v14, v17, v16
	v_fmac_f32_e32 v17, v18, v15
	v_fma_f32 v14, -v14, v17, v16
	v_div_fmas_f32 v14, v14, v15, v17
	v_div_fixup_f32 v13, v14, v4, v13
	v_trunc_f32_e32 v14, v13
	v_sub_f32_e32 v15, v13, v14
	v_cmp_ge_f32_e64 s[8:9], |v15|, 0.5
	s_nop 1
	v_cndmask_b32_e64 v15, 0, 1.0, s[8:9]
	v_div_scale_f32 v16, s[8:9], v4, v4, v2
	v_rcp_f32_e32 v17, v16
	v_bfi_b32 v13, s14, v15, v13
	v_add_f32_e32 v13, v14, v13
	v_cvt_i32_f32_e32 v13, v13
	v_fma_f32 v14, -v16, v17, 1.0
	v_fmac_f32_e32 v17, v14, v17
	v_div_scale_f32 v14, vcc, v2, v4, v2
	v_mul_f32_e32 v15, v14, v17
	v_fma_f32 v18, -v16, v15, v14
	v_fmac_f32_e32 v15, v18, v17
	v_div_scale_f32 v18, s[8:9], v4, v4, v3
	v_rcp_f32_e32 v19, v18
	v_fma_f32 v14, -v16, v15, v14
	v_div_fmas_f32 v14, v14, v17, v15
	v_div_fixup_f32 v2, v14, v4, v2
	v_fma_f32 v15, -v18, v19, 1.0
	v_fmac_f32_e32 v19, v15, v19
	v_div_scale_f32 v15, vcc, v3, v4, v3
	v_mul_f32_e32 v16, v15, v19
	v_fma_f32 v17, -v18, v16, v15
	v_fmac_f32_e32 v16, v17, v19
	v_div_scale_f32 v17, s[8:9], v4, v4, v10
	v_rcp_f32_e32 v20, v17
	v_fma_f32 v15, -v18, v16, v15
	v_div_fmas_f32 v15, v15, v19, v16
	v_div_fixup_f32 v3, v15, v4, v3
	v_fma_f32 v16, -v17, v20, 1.0
	v_fmac_f32_e32 v20, v16, v20
	v_div_scale_f32 v16, vcc, v10, v4, v10
	v_mul_f32_e32 v18, v16, v20
	v_fma_f32 v19, -v17, v18, v16
	v_fmac_f32_e32 v18, v19, v20
	v_fma_f32 v16, -v17, v18, v16
	v_div_fmas_f32 v16, v16, v20, v18
	v_div_fixup_f32 v10, v16, v4, v10
	v_trunc_f32_e32 v16, v10
	v_sub_f32_e32 v17, v10, v16
	v_trunc_f32_e32 v14, v3
	v_cmp_ge_f32_e64 s[8:9], |v17|, 0.5
	v_sub_f32_e32 v15, v3, v14
	s_nop 0
	v_cndmask_b32_e64 v17, 0, 1.0, s[8:9]
	v_cmp_ge_f32_e64 s[8:9], |v15|, 0.5
	v_bfi_b32 v10, s14, v17, v10
	v_add_f32_e32 v10, v16, v10
	v_cndmask_b32_e64 v15, 0, 1.0, s[8:9]
	v_bfi_b32 v3, s14, v15, v3
	v_add_f32_e32 v3, v14, v3
	v_trunc_f32_e32 v14, v2
	v_sub_f32_e32 v15, v2, v14
	v_cmp_ge_f32_e64 s[8:9], |v15|, 0.5
	v_cvt_i32_f32_e32 v10, v10
	v_cvt_i32_f32_e32 v3, v3
	v_cndmask_b32_e64 v15, 0, 1.0, s[8:9]
	v_bfi_b32 v2, s14, v15, v2
	v_add_f32_e32 v2, v14, v2
	v_cvt_i32_f32_e32 v2, v2
	v_and_b32_e32 v10, 0xff, v10
	v_lshlrev_b32_e32 v10, 16, v10
	v_mov_b32_e32 v14, 8
	v_lshlrev_b32_sdwa v3, v14, v3 dst_sel:DWORD dst_unused:UNUSED_PAD src0_sel:DWORD src1_sel:BYTE_0
	v_lshl_or_b32 v2, v2, 24, v10
	v_and_b32_e32 v10, 0xff, v13
	v_or3_b32 v14, v2, v3, v10
.LBB28_10:
	s_or_b64 exec, exec, s[4:5]
	v_and_b32_e32 v2, 7, v144
	v_cmp_eq_u32_e64 s[4:5], 0, v2
	v_add_u32_e32 v10, v5, v144
	ds_write_b32 v6, v14
	s_and_saveexec_b64 s[8:9], s[4:5]
	s_cbranch_execz .LBB28_12
; %bb.11:
	s_waitcnt lgkmcnt(1)
	v_add_f32_e32 v5, v11, v12
	ds_write_b64 v10, v[4:5] offset:256
.LBB28_12:
	s_or_b64 exec, exec, s[8:9]
	global_load_dwordx4 v[0:3], v[0:1], off offset:512
	s_waitcnt vmcnt(0)
	v_mul_f32_e32 v11, s12, v0
	v_mov_b32_e32 v0, v3
	v_pk_mul_f32 v[0:1], v[0:1], s[12:13]
	v_max_f32_e64 v3, |v11|, |v11|
	v_mul_f32_e32 v5, s12, v2
	v_max_f32_e64 v3, v3, |v1|
	v_max3_f32 v3, v3, |v5|, |v0|
	ds_bpermute_b32 v4, v8, v3
	s_waitcnt lgkmcnt(2)
	v_add_f32_e32 v12, v1, v11
	v_fmac_f32_e32 v12, s12, v2
	v_add_f32_e32 v2, v0, v12
	ds_bpermute_b32 v8, v8, v2
	s_waitcnt lgkmcnt(1)
	v_max_f32_e32 v4, v4, v4
	v_max_f32_e32 v3, v3, v4
	ds_bpermute_b32 v4, v7, v3
	s_mov_b32 s12, 0x42fe0000
	s_waitcnt lgkmcnt(1)
	v_add_f32_e32 v2, v2, v8
	ds_bpermute_b32 v7, v7, v2
	s_waitcnt lgkmcnt(1)
	v_max_f32_e32 v4, v4, v4
	v_max_f32_e32 v4, v3, v4
	ds_bpermute_b32 v8, v9, v4
	s_waitcnt lgkmcnt(1)
	v_add_f32_e32 v3, v2, v7
	s_waitcnt lgkmcnt(0)
	v_max_f32_e32 v2, v8, v8
	v_max_f32_e32 v2, v4, v2
	v_div_scale_f32 v7, s[8:9], s12, s12, v2
	v_rcp_f32_e32 v8, v7
	ds_bpermute_b32 v4, v9, v3
	v_div_scale_f32 v9, vcc, v2, s12, v2
	v_fma_f32 v12, -v7, v8, 1.0
	v_fmac_f32_e32 v8, v12, v8
	v_mul_f32_e32 v12, v9, v8
	v_fma_f32 v13, -v7, v12, v9
	v_fmac_f32_e32 v12, v13, v8
	v_fma_f32 v7, -v7, v12, v9
	v_div_fmas_f32 v7, v7, v8, v12
	v_div_fixup_f32 v2, v7, s12, v2
	v_cmp_neq_f32_e32 vcc, 0, v2
	v_mov_b32_e32 v7, 0
	s_and_saveexec_b64 s[8:9], vcc
	s_cbranch_execz .LBB28_14
; %bb.13:
	v_div_scale_f32 v7, s[12:13], v2, v2, v11
	v_rcp_f32_e32 v8, v7
	v_div_scale_f32 v9, vcc, v11, v2, v11
	s_brev_b32 s14, -2
	v_fma_f32 v12, -v7, v8, 1.0
	v_fmac_f32_e32 v8, v12, v8
	v_mul_f32_e32 v12, v9, v8
	v_fma_f32 v13, -v7, v12, v9
	v_fmac_f32_e32 v12, v13, v8
	v_fma_f32 v7, -v7, v12, v9
	v_div_fmas_f32 v7, v7, v8, v12
	v_div_fixup_f32 v7, v7, v2, v11
	v_trunc_f32_e32 v8, v7
	v_sub_f32_e32 v9, v7, v8
	v_cmp_ge_f32_e64 s[12:13], |v9|, 0.5
	s_nop 1
	v_cndmask_b32_e64 v9, 0, 1.0, s[12:13]
	v_div_scale_f32 v11, s[12:13], v2, v2, v0
	v_rcp_f32_e32 v12, v11
	v_bfi_b32 v7, s14, v9, v7
	v_add_f32_e32 v7, v8, v7
	v_cvt_i32_f32_e32 v7, v7
	v_fma_f32 v8, -v11, v12, 1.0
	v_fmac_f32_e32 v12, v8, v12
	v_div_scale_f32 v8, vcc, v0, v2, v0
	v_mul_f32_e32 v9, v8, v12
	v_fma_f32 v13, -v11, v9, v8
	v_fmac_f32_e32 v9, v13, v12
	v_div_scale_f32 v13, s[12:13], v2, v2, v1
	v_rcp_f32_e32 v14, v13
	v_fma_f32 v8, -v11, v9, v8
	v_div_fmas_f32 v8, v8, v12, v9
	v_div_fixup_f32 v0, v8, v2, v0
	v_fma_f32 v9, -v13, v14, 1.0
	v_fmac_f32_e32 v14, v9, v14
	v_div_scale_f32 v9, vcc, v1, v2, v1
	v_mul_f32_e32 v11, v9, v14
	v_fma_f32 v12, -v13, v11, v9
	v_fmac_f32_e32 v11, v12, v14
	v_div_scale_f32 v12, s[12:13], v2, v2, v5
	v_rcp_f32_e32 v15, v12
	v_fma_f32 v9, -v13, v11, v9
	v_div_fmas_f32 v9, v9, v14, v11
	v_div_fixup_f32 v1, v9, v2, v1
	v_fma_f32 v11, -v12, v15, 1.0
	v_fmac_f32_e32 v15, v11, v15
	v_div_scale_f32 v11, vcc, v5, v2, v5
	v_mul_f32_e32 v13, v11, v15
	v_fma_f32 v14, -v12, v13, v11
	v_fmac_f32_e32 v13, v14, v15
	v_fma_f32 v11, -v12, v13, v11
	v_div_fmas_f32 v11, v11, v15, v13
	v_div_fixup_f32 v5, v11, v2, v5
	v_trunc_f32_e32 v11, v5
	v_sub_f32_e32 v12, v5, v11
	v_trunc_f32_e32 v8, v1
	v_cmp_ge_f32_e64 s[12:13], |v12|, 0.5
	v_sub_f32_e32 v9, v1, v8
	s_nop 0
	v_cndmask_b32_e64 v12, 0, 1.0, s[12:13]
	v_cmp_ge_f32_e64 s[12:13], |v9|, 0.5
	v_bfi_b32 v5, s14, v12, v5
	v_add_f32_e32 v5, v11, v5
	v_cndmask_b32_e64 v9, 0, 1.0, s[12:13]
	v_bfi_b32 v1, s14, v9, v1
	v_add_f32_e32 v1, v8, v1
	v_trunc_f32_e32 v8, v0
	v_sub_f32_e32 v9, v0, v8
	v_cmp_ge_f32_e64 s[12:13], |v9|, 0.5
	v_cvt_i32_f32_e32 v5, v5
	v_cvt_i32_f32_e32 v1, v1
	v_cndmask_b32_e64 v9, 0, 1.0, s[12:13]
	v_bfi_b32 v0, s14, v9, v0
	v_add_f32_e32 v0, v8, v0
	v_cvt_i32_f32_e32 v0, v0
	v_and_b32_e32 v5, 0xff, v5
	v_lshlrev_b32_e32 v5, 16, v5
	v_mov_b32_e32 v8, 8
	v_lshlrev_b32_sdwa v1, v8, v1 dst_sel:DWORD dst_unused:UNUSED_PAD src0_sel:DWORD src1_sel:BYTE_0
	v_lshl_or_b32 v0, v0, 24, v5
	v_and_b32_e32 v5, 0xff, v7
	v_or3_b32 v7, v0, v1, v5
.LBB28_14:
	s_or_b64 exec, exec, s[8:9]
	ds_write_b32 v6, v7 offset:128
	s_and_saveexec_b64 s[8:9], s[4:5]
	s_cbranch_execz .LBB28_16
; %bb.15:
	s_waitcnt lgkmcnt(1)
	v_add_f32_e32 v3, v3, v4
	ds_write_b64 v10, v[2:3] offset:288
.LBB28_16:
	s_or_b64 exec, exec, s[8:9]
.LBB28_17:
	s_or_b64 exec, exec, s[6:7]
	v_and_b32_e32 v32, 3, v144
	v_lshlrev_b32_e32 v33, 2, v32
	s_waitcnt lgkmcnt(0)
	s_barrier
	ds_read2_b32 v[70:71], v33 offset1:4
	ds_read2_b32 v[72:73], v33 offset0:8 offset1:12
	ds_read_b128 v[0:3], v28 offset:256
	ds_read_b128 v[4:7], v28 offset:272
	;; [unrolled: 1-line block ×4, first 2 shown]
	ds_read2_b32 v[74:75], v33 offset0:16 offset1:20
	ds_read2_b32 v[76:77], v33 offset0:24 offset1:28
	;; [unrolled: 1-line block ×9, first 2 shown]
	ds_read_b128 v[16:19], v28 offset:768
	ds_read_b128 v[20:23], v28 offset:784
	ds_read2_b32 v[92:93], v33 offset0:152 offset1:156
	ds_read2_b32 v[94:95], v33 offset0:160 offset1:164
	;; [unrolled: 1-line block ×4, first 2 shown]
	ds_read_b128 v[24:27], v28 offset:800
	ds_read_b128 v[28:31], v28 offset:816
	ds_read2_b32 v[100:101], v33 offset0:184 offset1:188
	s_cmp_eq_u64 s[46:47], 0
	s_mov_b32 s21, s52
	s_waitcnt lgkmcnt(0)
	s_barrier
	s_cbranch_scc1 .LBB28_19
; %bb.18:
	s_load_dword s4, s[0:1], 0xd0
	s_mov_b32 s5, 0
	s_waitcnt lgkmcnt(0)
	s_mul_i32 s4, s4, s54
	s_add_i32 s4, s4, s2
	s_lshl_b64 s[4:5], s[4:5], 2
	s_add_u32 s4, s46, s4
	s_addc_u32 s5, s47, s5
	s_load_dword s21, s[4:5], 0x0
.LBB28_19:
	v_lshlrev_b32_e32 v33, 5, v145
	s_mov_b32 s4, 0xfeffffff
	s_mov_b32 s25, 0
	v_add_u32_e32 v146, v33, v144
	s_lshl_b32 s22, s3, 7
	s_mov_b32 s5, s4
	s_mov_b32 s24, s25
	s_waitcnt lgkmcnt(0)
	s_cmp_ge_i32 s22, s21
	v_mov_b64_e32 v[68:69], s[24:25]
	v_mov_b64_e32 v[138:139], s[4:5]
	v_lshlrev_b32_e32 v148, 2, v144
	v_mbcnt_lo_u32_b32 v150, -1, 0
	v_lshlrev_b32_e32 v147, 1, v146
	s_cbranch_scc1 .LBB28_38
; %bb.20:
	s_sub_i32 s2, 0, s26
	s_load_dwordx2 s[46:47], s[0:1], 0x8c
	s_load_dwordx4 s[12:15], s[0:1], 0x98
	s_sub_i32 s4, 0, s10
	s_mul_i32 s2, s2, s29
	s_mul_i32 s4, s4, s28
	s_mul_hi_u32 s2, s29, s2
	s_mul_hi_u32 s4, s28, s4
	s_abs_i32 s5, s20
	s_add_i32 s29, s29, s2
	s_add_i32 s28, s28, s4
	s_mul_hi_u32 s4, s5, s29
	s_ashr_i32 s6, s20, 31
	s_ashr_i32 s7, s27, 31
	;; [unrolled: 1-line block ×3, first 2 shown]
	s_waitcnt lgkmcnt(0)
	s_mul_i32 s13, s54, s13
	s_mul_hi_u32 s23, s54, s12
	s_xor_b32 s6, s6, s7
	s_mul_i32 s7, s4, s26
	s_add_i32 s13, s23, s13
	s_mul_i32 s23, s9, s12
	s_sub_i32 s5, s5, s7
	s_abs_i32 s2, s54
	s_add_i32 s13, s13, s23
	s_add_i32 s7, s4, 1
	s_sub_i32 s23, s5, s26
	s_cmp_ge_u32 s5, s26
	s_cselect_b32 s4, s7, s4
	s_cselect_b32 s5, s23, s5
	s_add_i32 s7, s4, 1
	s_cmp_ge_u32 s5, s26
	s_cselect_b32 s4, s7, s4
	s_xor_b32 s4, s4, s6
	s_sub_i32 s23, s4, s6
	s_load_dwordx2 s[6:7], s[0:1], 0xa8
	s_mul_i32 s4, s23, s47
	s_mul_i32 s12, s54, s12
	s_ashr_i32 s5, s4, 31
	s_add_u32 s12, s38, s12
	s_addc_u32 s13, s39, s13
	s_add_u32 s12, s12, s4
	s_waitcnt lgkmcnt(0)
	s_mul_i32 s7, s54, s7
	s_mul_hi_u32 s26, s54, s6
	s_addc_u32 s13, s13, s5
	s_add_i32 s7, s26, s7
	s_mul_i32 s26, s9, s6
	s_mul_i32 s23, s23, s15
	s_add_i32 s7, s7, s26
	s_mul_i32 s6, s54, s6
	s_ashr_i32 s15, s23, 31
	s_add_u32 s6, s40, s6
	s_mul_hi_u32 s8, s2, s28
	s_addc_u32 s7, s41, s7
	s_add_u32 s6, s6, s23
	s_mul_i32 s8, s8, s10
	s_addc_u32 s7, s7, s15
	s_sub_i32 s2, s2, s8
	s_sub_i32 s8, s2, s10
	s_cmp_ge_u32 s2, s10
	s_cselect_b32 s2, s8, s2
	s_sub_i32 s8, s2, s10
	s_load_dwordx2 s[4:5], s[0:1], 0xc8
	s_load_dword s24, s[0:1], 0xd4
	s_cmp_ge_u32 s2, s10
	s_cselect_b32 s2, s8, s2
	s_xor_b32 s2, s2, s9
	s_sub_i32 s2, s2, s9
	s_ashr_i32 s8, s2, 31
	s_waitcnt lgkmcnt(0)
	s_mul_i32 s5, s2, s5
	s_mul_hi_u32 s9, s2, s4
	s_add_i32 s5, s9, s5
	s_mul_i32 s8, s8, s4
	s_add_i32 s5, s5, s8
	s_mul_i32 s2, s2, s4
	s_add_u32 s2, s42, s2
	s_addc_u32 s4, s43, s5
	s_mul_i32 s5, s33, s11
	s_ashr_i32 s8, s5, 31
	s_add_u32 s2, s2, s5
	s_mov_b32 s23, s25
	s_addc_u32 s8, s4, s8
	s_lshl_b64 s[4:5], s[22:23], 1
	s_add_u32 s26, s2, s4
	s_addc_u32 s27, s8, s5
	s_mul_i32 s2, s22, s14
	s_add_u32 s28, s6, s2
	s_addc_u32 s29, s7, 0
	s_mul_i32 s2, s22, s46
	s_add_u32 s30, s12, s2
	v_and_b32_e32 v34, 0x7c, v144
	v_mbcnt_hi_u32_b32 v35, -1, v150
	s_addc_u32 s31, s13, 0
	v_add_u32_e32 v102, v33, v34
	v_and_b32_e32 v34, 0x7c, v35
	v_add_u32_e32 v34, 4, v34
	v_xor_b32_e32 v36, 2, v35
	s_cmp_lg_u64 s[42:43], 0
	v_cmp_lt_i32_e32 vcc, v36, v34
	s_cselect_b64 s[6:7], -1, 0
	s_lshl_b32 s24, s24, 7
	v_cndmask_b32_e32 v36, v35, v36, vcc
	s_cmp_lt_i32 s33, s18
	v_lshlrev_b32_e32 v151, 2, v36
	v_xor_b32_e32 v36, 1, v35
	s_cselect_b64 s[8:9], -1, 0
	v_cmp_lt_i32_e32 vcc, v36, v34
	s_and_b64 s[34:35], s[6:7], s[8:9]
	s_or_b32 s8, s33, 1
	v_cndmask_b32_e32 v34, v35, v36, vcc
	s_cmp_lt_i32 s8, s18
	v_lshlrev_b32_e32 v152, 2, v34
	v_and_b32_e32 v34, 0x60, v35
	s_cselect_b64 s[8:9], -1, 0
	v_add_u32_e32 v36, 32, v34
	v_cmp_eq_u32_e64 s[4:5], 0, v32
	s_and_b64 s[36:37], s[6:7], s[8:9]
	v_cmp_eq_u32_e64 s[6:7], 1, v32
	v_cmp_eq_u32_e64 s[8:9], 2, v32
	;; [unrolled: 1-line block ×3, first 2 shown]
	v_xor_b32_e32 v32, 4, v35
	v_cmp_lt_i32_e32 vcc, v32, v36
	v_lshrrev_b32_e32 v37, 3, v144
	v_mul_lo_u32 v108, v102, s46
	v_cndmask_b32_e32 v32, v35, v32, vcc
	v_lshlrev_b32_e32 v153, 2, v32
	v_xor_b32_e32 v32, 8, v35
	v_cmp_lt_i32_e32 vcc, v32, v36
	v_add_u32_e32 v112, s46, v108
	v_mov_b32_e32 v107, 0
	v_cndmask_b32_e32 v32, v35, v32, vcc
	v_lshlrev_b32_e32 v154, 2, v32
	v_xor_b32_e32 v32, 16, v35
	v_cmp_lt_i32_e32 vcc, v32, v36
	v_lshlrev_b32_e32 v34, 3, v144
	v_add_u32_e32 v114, s46, v112
	v_cndmask_b32_e32 v32, v35, v32, vcc
	v_lshlrev_b32_e32 v155, 2, v32
	v_or_b32_e32 v32, v33, v37
	v_lshlrev_b32_e32 v156, 1, v32
	v_mul_lo_u32 v118, v32, s14
	v_add_u32_e32 v33, v33, v37
	v_or_b32_e32 v32, 16, v32
	v_add_u32_e32 v35, 4, v33
	v_mul_lo_u32 v126, v32, s14
	v_add_u32_e32 v32, 20, v33
	v_mul_lo_u32 v120, v35, s14
	;; [unrolled: 2-line block ×5, first 2 shown]
	v_add_u32_e32 v32, 28, v33
	v_and_b32_e32 v34, 56, v34
	v_mov_b32_e32 v103, v107
	v_add_u32_e32 v110, s52, v102
	v_add_u32_e32 v116, s46, v114
	v_mov_b32_e32 v36, 0x100
	v_mul_lo_u32 v124, v35, s14
	v_mul_lo_u32 v132, v32, s14
	s_ashr_i32 s53, s52, 31
	v_mov_b32_e32 v140, 0xfeffffff
	v_and_b32_e32 v104, 12, v148
	v_mov_b32_e32 v105, v107
	s_mul_i32 s2, s24, s46
	s_mul_i32 s23, s24, s14
	v_ashrrev_i32_e32 v109, 31, v108
	v_ashrrev_i32_e32 v111, 31, v110
	;; [unrolled: 1-line block ×6, first 2 shown]
	v_lshl_add_u32 v157, v33, 1, v36
	v_ashrrev_i32_e32 v121, 31, v120
	v_ashrrev_i32_e32 v123, 31, v122
	;; [unrolled: 1-line block ×7, first 2 shown]
	v_lshl_add_u64 v[134:135], v[102:103], 0, s[52:53]
	s_mov_b32 s38, 0x3fb8aa3b
	s_mov_b32 s39, 0xc2ce8ed0
	;; [unrolled: 1-line block ×3, first 2 shown]
	v_lshlrev_b32_e32 v106, 1, v34
	v_mov_b32_e32 v103, 0x7f800000
	v_mov_b32_e32 v68, v107
	;; [unrolled: 1-line block ×4, first 2 shown]
                                        ; implicit-def: $vgpr136
	s_branch .LBB28_22
.LBB28_21:                              ;   in Loop: Header=BB28_22 Depth=1
	v_cndmask_b32_e64 v32, v136, v34, s[4:5]
	v_cndmask_b32_e64 v32, v32, v37, s[6:7]
	;; [unrolled: 1-line block ×3, first 2 shown]
	v_add_f32_e32 v34, 0x40051340, v34
	v_add_f32_e32 v37, 0x40051340, v37
	v_max3_f32 v34, v140, v34, v37
	v_add_f32_e32 v37, 0x40051340, v39
	v_add_f32_e32 v39, 0x40051340, v51
	v_cndmask_b32_e64 v32, v32, v51, s[10:11]
	scratch_load_dwordx4 v[48:51], off, off
	scratch_load_dwordx4 v[56:59], off, off offset:16
	scratch_load_dwordx4 v[60:63], off, off offset:32
	scratch_load_dwordx4 v[52:55], off, off offset:48
	v_cndmask_b32_e64 v33, v137, v35, s[4:5]
	v_cndmask_b32_e64 v33, v33, v38, s[6:7]
	v_add_f32_e32 v35, 0x40051340, v35
	v_add_f32_e32 v38, 0x40051340, v38
	v_cndmask_b32_e64 v33, v33, v40, s[8:9]
	v_max3_f32 v35, v141, v35, v38
	v_add_f32_e32 v38, 0x40051340, v40
	v_add_f32_e32 v40, 0x40051340, v36
	v_max3_f32 v35, v35, v38, v40
	ds_bpermute_b32 v38, v153, v35
	v_max3_f32 v34, v34, v37, v39
	ds_bpermute_b32 v37, v153, v34
	v_cndmask_b32_e64 v33, v33, v36, s[10:11]
	s_add_i32 s22, s24, s22
	s_waitcnt lgkmcnt(1)
	v_max_f32_e32 v36, v38, v38
	v_max_f32_e32 v35, v35, v36
	s_waitcnt lgkmcnt(0)
	v_max_f32_e32 v36, v37, v37
	ds_bpermute_b32 v37, v154, v35
	v_max_f32_e32 v34, v34, v36
	ds_bpermute_b32 v36, v154, v34
	s_add_u32 s30, s30, s2
	s_addc_u32 s31, s31, 0
	s_waitcnt lgkmcnt(1)
	v_max_f32_e32 v37, v37, v37
	v_max_f32_e32 v35, v35, v37
	s_waitcnt lgkmcnt(0)
	v_max_f32_e32 v36, v36, v36
	ds_bpermute_b32 v37, v155, v35
	v_max_f32_e32 v34, v34, v36
	ds_bpermute_b32 v36, v155, v34
	s_waitcnt lgkmcnt(1)
	v_max_f32_e32 v37, v37, v37
	v_max_f32_e32 v139, v35, v37
	s_waitcnt lgkmcnt(0)
	v_max_f32_e32 v35, v36, v36
	v_max_f32_e32 v138, v34, v35
	v_pk_add_f32 v[64:65], v[32:33], v[138:139] neg_lo:[0,1] neg_hi:[0,1]
	v_pk_add_f32 v[140:141], v[140:141], v[138:139] neg_lo:[0,1] neg_hi:[0,1]
	v_mul_f32_e32 v32, 0x3fb8aa3b, v65
	v_fma_f32 v33, v65, s38, -v32
	v_rndne_f32_e32 v34, v32
	v_mul_f32_e32 v40, 0x3fb8aa3b, v64
	v_fmac_f32_e32 v33, 0x32a5705f, v65
	v_sub_f32_e32 v32, v32, v34
	v_fma_f32 v41, v64, s38, -v40
	v_rndne_f32_e32 v42, v40
	v_add_f32_e32 v32, v32, v33
	v_fmac_f32_e32 v41, 0x32a5705f, v64
	v_sub_f32_e32 v40, v40, v42
	v_exp_f32_e32 v36, v32
	v_cvt_i32_f32_e32 v37, v34
	v_add_f32_e32 v40, v40, v41
	v_exp_f32_e32 v45, v40
	v_cvt_i32_f32_e32 v46, v42
	v_ldexp_f32 v44, v36, v37
	v_cmp_ngt_f32_e32 vcc, s39, v65
	v_cmp_ngt_f32_e64 s[12:13], s39, v64
	scratch_load_dwordx4 v[36:39], off, off offset:80
	scratch_load_dwordx4 v[40:43], off, off offset:96
	v_cndmask_b32_e32 v137, 0, v44, vcc
	v_cmp_nlt_f32_e32 vcc, s40, v65
	v_ldexp_f32 v65, v45, v46
	v_cndmask_b32_e64 v65, 0, v65, s[12:13]
	v_cmp_nlt_f32_e64 s[12:13], s40, v64
	scratch_load_dwordx4 v[44:47], off, off offset:112
	scratch_load_dwordx4 v[32:35], off, off offset:64
	v_cndmask_b32_e64 v136, v103, v65, s[12:13]
	v_cvt_f16_f32_e32 v158, v136
	v_lshl_add_u64 v[64:65], s[28:29], 0, v[118:119]
	v_lshl_add_u64 v[142:143], v[64:65], 0, v[106:107]
	global_load_dwordx4 v[64:67], v[142:143], off
	ds_write_b16 v147, v158
	v_mul_f32_e32 v158, 0x3fb8aa3b, v141
	v_fma_f32 v159, v141, s38, -v158
	v_rndne_f32_e32 v160, v158
	v_fmac_f32_e32 v159, 0x32a5705f, v141
	v_sub_f32_e32 v158, v158, v160
	v_add_f32_e32 v158, v158, v159
	v_cvt_i32_f32_e32 v159, v160
	v_mul_f32_e32 v160, 0x3fb8aa3b, v140
	v_fma_f32 v161, v140, s38, -v160
	v_rndne_f32_e32 v162, v160
	v_fmac_f32_e32 v161, 0x32a5705f, v140
	v_sub_f32_e32 v160, v160, v162
	v_exp_f32_e32 v158, v158
	v_add_f32_e32 v160, v160, v161
	v_exp_f32_e32 v160, v160
	v_cvt_i32_f32_e32 v161, v162
	v_cndmask_b32_e32 v137, v103, v137, vcc
	v_ldexp_f32 v158, v158, v159
	v_cmp_ngt_f32_e32 vcc, s39, v141
	v_ldexp_f32 v159, v160, v161
	s_nop 0
	v_cndmask_b32_e32 v158, 0, v158, vcc
	v_cmp_ngt_f32_e32 vcc, s39, v140
	s_nop 1
	v_cndmask_b32_e32 v159, 0, v159, vcc
	v_cmp_nlt_f32_e32 vcc, s40, v140
	s_nop 1
	v_cndmask_b32_e32 v140, v103, v159, vcc
	v_cmp_nlt_f32_e32 vcc, s40, v141
	v_cvt_f16_f32_e32 v162, v140
	s_waitcnt vmcnt(7)
	v_pk_mul_f16 v56, v162, v56 op_sel_hi:[0,1]
	v_cndmask_b32_e32 v141, v103, v158, vcc
	global_load_dwordx4 v[158:161], v[142:143], off offset:128
	v_pk_mul_f16 v57, v162, v57 op_sel_hi:[0,1]
	v_pk_mul_f16 v58, v162, v58 op_sel_hi:[0,1]
	;; [unrolled: 1-line block ×3, first 2 shown]
	scratch_store_dwordx4 off, v[56:59], off offset:16
	s_waitcnt vmcnt(7)
	v_pk_mul_f16 v52, v162, v52 op_sel_hi:[0,1]
	v_pk_mul_f16 v53, v162, v53 op_sel_hi:[0,1]
	;; [unrolled: 1-line block ×8, first 2 shown]
	scratch_store_dwordx4 off, v[52:55], off offset:48
	scratch_load_dwordx4 v[60:63], off, off offset:16
	v_cvt_f16_f32_e32 v166, v141
	global_load_dwordx4 v[52:55], v[142:143], off offset:256
	v_pk_mul_f16 v48, v162, v48 op_sel_hi:[0,1]
	scratch_store_dwordx4 off, v[56:59], off offset:32
	v_pk_mul_f16 v49, v162, v49 op_sel_hi:[0,1]
	v_pk_mul_f16 v50, v162, v50 op_sel_hi:[0,1]
	v_cvt_f16_f32_e32 v56, v137
	v_pk_mul_f16 v51, v162, v51 op_sel_hi:[0,1]
	scratch_store_dwordx4 off, v[48:51], off
	v_pk_fma_f32 v[68:69], v[68:69], v[140:141], v[136:137]
	ds_write_b16 v147, v56 offset:256
	s_waitcnt vmcnt(11)
	v_pk_mul_f16 v56, v166, v36 op_sel_hi:[0,1]
	v_pk_mul_f16 v57, v166, v37 op_sel_hi:[0,1]
	;; [unrolled: 1-line block ×4, first 2 shown]
	scratch_store_dwordx4 off, v[56:59], off offset:80
	s_waitcnt vmcnt(10)
	v_pk_mul_f16 v36, v166, v44 op_sel_hi:[0,1]
	v_pk_mul_f16 v37, v166, v45 op_sel_hi:[0,1]
	;; [unrolled: 1-line block ×4, first 2 shown]
	scratch_store_dwordx4 off, v[36:39], off offset:112
	s_waitcnt vmcnt(10)
	v_pk_mul_f16 v162, v166, v32 op_sel_hi:[0,1]
	v_pk_mul_f16 v163, v166, v33 op_sel_hi:[0,1]
	s_waitcnt vmcnt(9)
	v_lshlrev_b32_e32 v36, 16, v64
	v_and_b32_e32 v37, 0xffff0000, v64
	v_pk_mul_f16 v32, v166, v40 op_sel_hi:[0,1]
	v_pk_mul_f16 v33, v166, v41 op_sel_hi:[0,1]
	v_cvt_f16_f32_e32 v40, v37
	v_cvt_f16_f32_e32 v41, v36
	v_lshlrev_b32_e32 v36, 16, v65
	v_and_b32_e32 v37, 0xffff0000, v65
	v_pk_mul_f16 v164, v166, v34 op_sel_hi:[0,1]
	v_pk_mul_f16 v165, v166, v35 op_sel_hi:[0,1]
	v_pk_mul_f16 v34, v166, v42 op_sel_hi:[0,1]
	v_pk_mul_f16 v35, v166, v43 op_sel_hi:[0,1]
	v_cvt_f16_f32_e32 v42, v37
	v_cvt_f16_f32_e32 v43, v36
	v_lshlrev_b32_e32 v36, 16, v66
	v_and_b32_e32 v37, 0xffff0000, v66
	scratch_store_dwordx4 off, v[162:165], off offset:64
	scratch_store_dwordx4 off, v[32:35], off offset:96
	v_cvt_f16_f32_e32 v64, v37
	v_cvt_f16_f32_e32 v65, v36
	v_lshlrev_b32_e32 v36, 16, v67
	v_and_b32_e32 v37, 0xffff0000, v67
	ds_read_u16 v166, v156
	ds_read_u16 v167, v156 offset:256
	scratch_load_dwordx4 v[44:47], off, off offset:32
	v_cvt_f16_f32_e32 v66, v37
	v_cvt_f16_f32_e32 v67, v36
	global_load_dwordx4 v[36:39], v[142:143], off offset:384
	v_pack_b32_f16 v41, v41, v40
	v_pack_b32_f16 v42, v43, v42
	;; [unrolled: 1-line block ×4, first 2 shown]
	s_waitcnt lgkmcnt(1)
	v_pk_fma_f16 v40, v166, v41, v48 op_sel_hi:[0,1,1]
	s_waitcnt lgkmcnt(0)
	v_pk_fma_f16 v64, v167, v41, v162 op_sel_hi:[0,1,1]
	v_pk_fma_f16 v41, v166, v42, v49 op_sel_hi:[0,1,1]
	;; [unrolled: 1-line block ×6, first 2 shown]
	scratch_store_dwordx4 off, v[40:43], off
	v_pk_fma_f16 v67, v167, v67, v165 op_sel_hi:[0,1,1]
	s_waitcnt vmcnt(13)
	v_lshlrev_b32_e32 v40, 16, v158
	v_and_b32_e32 v41, 0xffff0000, v158
	v_cvt_f16_f32_e32 v140, v41
	v_cvt_f16_f32_e32 v141, v40
	v_lshlrev_b32_e32 v40, 16, v159
	v_and_b32_e32 v41, 0xffff0000, v159
	v_cvt_f16_f32_e32 v142, v41
	v_cvt_f16_f32_e32 v143, v40
	;; [unrolled: 4-line block ×3, first 2 shown]
	scratch_load_dwordx4 v[48:51], off, off offset:48
	scratch_load_dwordx4 v[40:43], off, off offset:112
	v_pack_b32_f16 v142, v143, v142
	scratch_store_dwordx4 off, v[64:67], off offset:64
	v_pack_b32_f16 v143, v159, v158
	s_waitcnt vmcnt(13)
	v_pk_fma_f16 v61, v166, v142, v61 op_sel_hi:[0,1,1]
	v_lshlrev_b32_e32 v64, 16, v161
	v_and_b32_e32 v65, 0xffff0000, v161
	v_cvt_f16_f32_e32 v158, v65
	v_cvt_f16_f32_e32 v159, v64
	v_lshl_add_u64 v[64:65], s[28:29], 0, v[120:121]
	v_pk_fma_f16 v57, v167, v142, v57 op_sel_hi:[0,1,1]
	s_waitcnt vmcnt(12)
	v_lshlrev_b32_e32 v142, 16, v52
	v_and_b32_e32 v52, 0xffff0000, v52
	v_pack_b32_f16 v160, v141, v140
	v_lshl_add_u64 v[140:141], v[64:65], 0, v[106:107]
	v_cvt_f16_f32_e32 v52, v52
	v_cvt_f16_f32_e32 v142, v142
	global_load_dwordx4 v[64:67], v[140:141], off
	v_pack_b32_f16 v158, v159, v158
	v_pk_fma_f16 v60, v166, v160, v60 op_sel_hi:[0,1,1]
	v_pack_b32_f16 v142, v142, v52
	v_lshlrev_b32_e32 v52, 16, v53
	v_and_b32_e32 v53, 0xffff0000, v53
	v_cvt_f16_f32_e32 v53, v53
	v_cvt_f16_f32_e32 v52, v52
	v_pk_fma_f16 v56, v167, v160, v56 op_sel_hi:[0,1,1]
	v_pk_fma_f16 v62, v166, v143, v62 op_sel_hi:[0,1,1]
	;; [unrolled: 1-line block ×5, first 2 shown]
	scratch_store_dwordx4 off, v[60:63], off offset:16
	scratch_store_dwordx4 off, v[56:59], off offset:80
	v_lshlrev_b32_e32 v143, 16, v54
	v_and_b32_e32 v54, 0xffff0000, v54
	scratch_load_dwordx4 v[60:63], off, off
	scratch_load_dwordx4 v[56:59], off, off offset:64
	v_cvt_f16_f32_e32 v158, v54
	v_lshlrev_b32_e32 v54, 16, v55
	v_and_b32_e32 v55, 0xffff0000, v55
	v_cvt_f16_f32_e32 v159, v55
	v_cvt_f16_f32_e32 v160, v54
	v_pack_b32_f16 v161, v52, v53
	global_load_dwordx4 v[52:55], v[140:141], off offset:128
	v_cvt_f16_f32_e32 v143, v143
	v_pk_fma_f16 v32, v167, v142, v32 op_sel_hi:[0,1,1]
	v_pk_fma_f16 v33, v167, v161, v33 op_sel_hi:[0,1,1]
	v_pack_b32_f16 v143, v143, v158
	v_pack_b32_f16 v158, v160, v159
	v_pk_fma_f16 v34, v167, v143, v34 op_sel_hi:[0,1,1]
	v_pk_fma_f16 v35, v167, v158, v35 op_sel_hi:[0,1,1]
	s_waitcnt vmcnt(11)
	v_pk_fma_f16 v44, v166, v142, v44 op_sel_hi:[0,1,1]
	scratch_store_dwordx4 off, v[32:35], off offset:96
	v_pk_fma_f16 v45, v166, v161, v45 op_sel_hi:[0,1,1]
	s_waitcnt vmcnt(11)
	v_lshlrev_b32_e32 v142, 16, v36
	v_and_b32_e32 v36, 0xffff0000, v36
	v_cvt_f16_f32_e32 v36, v36
	v_cvt_f16_f32_e32 v142, v142
	v_lshlrev_b32_e32 v32, 16, v37
	v_and_b32_e32 v33, 0xffff0000, v37
	v_cvt_f16_f32_e32 v37, v32
	v_pack_b32_f16 v142, v142, v36
	v_cvt_f16_f32_e32 v36, v33
	v_pk_fma_f16 v46, v166, v143, v46 op_sel_hi:[0,1,1]
	v_pk_fma_f16 v47, v166, v158, v47 op_sel_hi:[0,1,1]
	scratch_store_dwordx4 off, v[44:47], off offset:32
	v_lshlrev_b32_e32 v32, 16, v38
	v_and_b32_e32 v33, 0xffff0000, v38
	v_lshlrev_b32_e32 v38, 16, v39
	v_and_b32_e32 v39, 0xffff0000, v39
	v_cvt_f16_f32_e32 v143, v33
	v_cvt_f16_f32_e32 v158, v32
	scratch_load_dwordx4 v[32:35], off, off offset:16
	scratch_load_dwordx4 v[44:47], off, off offset:80
	v_cvt_f16_f32_e32 v159, v39
	v_cvt_f16_f32_e32 v160, v38
	v_pack_b32_f16 v161, v37, v36
	global_load_dwordx4 v[36:39], v[140:141], off offset:256
	v_pack_b32_f16 v143, v158, v143
	v_pack_b32_f16 v158, v160, v159
	s_waitcnt vmcnt(13)
	v_pk_fma_f16 v48, v166, v142, v48 op_sel_hi:[0,1,1]
	s_waitcnt vmcnt(12)
	v_pk_fma_f16 v40, v167, v142, v40 op_sel_hi:[0,1,1]
	v_pk_fma_f16 v49, v166, v161, v49 op_sel_hi:[0,1,1]
	;; [unrolled: 1-line block ×7, first 2 shown]
	scratch_store_dwordx4 off, v[48:51], off offset:48
	scratch_store_dwordx4 off, v[40:43], off offset:112
	ds_read_u16 v170, v156 offset:8
	ds_read_u16 v171, v157 offset:8
	scratch_load_dwordx4 v[158:161], off, off offset:32
	scratch_load_dwordx4 v[162:165], off, off offset:96
	s_waitcnt vmcnt(14)
	v_lshlrev_b32_e32 v40, 16, v64
	v_and_b32_e32 v41, 0xffff0000, v64
	v_lshlrev_b32_e32 v42, 16, v65
	v_and_b32_e32 v43, 0xffff0000, v65
	;; [unrolled: 2-line block ×4, first 2 shown]
	global_load_dwordx4 v[64:67], v[140:141], off offset:384
	v_cvt_f16_f32_e32 v41, v41
	v_cvt_f16_f32_e32 v40, v40
	;; [unrolled: 1-line block ×8, first 2 shown]
	v_pack_b32_f16 v41, v40, v41
	v_pack_b32_f16 v42, v42, v43
	v_pack_b32_f16 v43, v48, v49
	v_pack_b32_f16 v51, v50, v51
	s_waitcnt vmcnt(12) lgkmcnt(1)
	v_pk_fma_f16 v40, v170, v41, v60 op_sel_hi:[0,1,1]
	s_waitcnt vmcnt(11) lgkmcnt(0)
	v_pk_fma_f16 v48, v171, v41, v56 op_sel_hi:[0,1,1]
	v_pk_fma_f16 v41, v170, v42, v61 op_sel_hi:[0,1,1]
	;; [unrolled: 1-line block ×6, first 2 shown]
	scratch_store_dwordx4 off, v[40:43], off
	v_pk_fma_f16 v51, v171, v51, v59 op_sel_hi:[0,1,1]
	scratch_load_dwordx4 v[140:143], off, off offset:48
	scratch_load_dwordx4 v[166:169], off, off offset:112
	s_waitcnt vmcnt(13)
	v_lshlrev_b32_e32 v40, 16, v52
	v_and_b32_e32 v41, 0xffff0000, v52
	v_cvt_f16_f32_e32 v41, v41
	v_cvt_f16_f32_e32 v40, v40
	v_lshlrev_b32_e32 v42, 16, v53
	v_and_b32_e32 v43, 0xffff0000, v53
	v_lshlrev_b32_e32 v52, 16, v54
	v_and_b32_e32 v53, 0xffff0000, v54
	v_cvt_f16_f32_e32 v53, v53
	v_cvt_f16_f32_e32 v52, v52
	;; [unrolled: 1-line block ×4, first 2 shown]
	scratch_store_dwordx4 off, v[48:51], off offset:64
	s_waitcnt vmcnt(4)
	v_lshlrev_b32_e32 v56, 16, v64
	v_pack_b32_f16 v48, v40, v41
	v_lshlrev_b32_e32 v40, 16, v55
	v_and_b32_e32 v41, 0xffff0000, v55
	v_pack_b32_f16 v50, v52, v53
	v_cvt_f16_f32_e32 v51, v41
	v_cvt_f16_f32_e32 v52, v40
	v_lshl_add_u64 v[40:41], s[28:29], 0, v[122:123]
	v_lshl_add_u64 v[60:61], v[40:41], 0, v[106:107]
	v_pack_b32_f16 v49, v42, v43
	global_load_dwordx4 v[40:43], v[60:61], off
	v_pack_b32_f16 v51, v52, v51
	v_pk_fma_f16 v32, v170, v48, v32 op_sel_hi:[0,1,1]
	v_pk_fma_f16 v44, v171, v48, v44 op_sel_hi:[0,1,1]
	;; [unrolled: 1-line block ×5, first 2 shown]
	v_lshlrev_b32_e32 v48, 16, v36
	v_and_b32_e32 v36, 0xffff0000, v36
	v_cvt_f16_f32_e32 v36, v36
	v_cvt_f16_f32_e32 v48, v48
	scratch_store_dwordx4 off, v[32:35], off offset:16
	v_pk_fma_f16 v45, v171, v49, v45 op_sel_hi:[0,1,1]
	v_pk_fma_f16 v46, v171, v50, v46 op_sel_hi:[0,1,1]
	v_lshlrev_b32_e32 v32, 16, v37
	v_and_b32_e32 v33, 0xffff0000, v37
	v_cvt_f16_f32_e32 v33, v33
	v_cvt_f16_f32_e32 v32, v32
	v_pk_fma_f16 v47, v171, v51, v47 op_sel_hi:[0,1,1]
	v_lshlrev_b32_e32 v34, 16, v38
	v_and_b32_e32 v35, 0xffff0000, v38
	scratch_store_dwordx4 off, v[44:47], off offset:80
	v_cvt_f16_f32_e32 v37, v34
	v_lshlrev_b32_e32 v34, 16, v39
	v_pack_b32_f16 v44, v48, v36
	v_cvt_f16_f32_e32 v36, v35
	v_and_b32_e32 v35, 0xffff0000, v39
	scratch_load_dwordx4 v[52:55], off, off
	scratch_load_dwordx4 v[48:51], off, off offset:64
	v_cvt_f16_f32_e32 v38, v35
	v_cvt_f16_f32_e32 v39, v34
	v_pack_b32_f16 v45, v32, v33
	global_load_dwordx4 v[32:35], v[60:61], off offset:128
	v_pack_b32_f16 v46, v37, v36
	v_pack_b32_f16 v47, v39, v38
	v_pk_fma_f16 v36, v170, v44, v158 op_sel_hi:[0,1,1]
	v_pk_fma_f16 v37, v170, v45, v159 op_sel_hi:[0,1,1]
	;; [unrolled: 1-line block ×4, first 2 shown]
	v_and_b32_e32 v57, 0xffff0000, v64
	scratch_store_dwordx4 off, v[36:39], off offset:32
	v_cvt_f16_f32_e32 v57, v57
	v_cvt_f16_f32_e32 v56, v56
	v_lshlrev_b32_e32 v36, 16, v65
	v_and_b32_e32 v37, 0xffff0000, v65
	v_cvt_f16_f32_e32 v37, v37
	v_cvt_f16_f32_e32 v36, v36
	v_pk_fma_f16 v44, v171, v44, v162 op_sel_hi:[0,1,1]
	v_pk_fma_f16 v45, v171, v45, v163 op_sel_hi:[0,1,1]
	;; [unrolled: 1-line block ×4, first 2 shown]
	v_lshlrev_b32_e32 v38, 16, v66
	v_and_b32_e32 v39, 0xffff0000, v66
	scratch_store_dwordx4 off, v[44:47], off offset:96
	v_cvt_f16_f32_e32 v62, v39
	v_cvt_f16_f32_e32 v64, v38
	v_lshlrev_b32_e32 v38, 16, v67
	v_and_b32_e32 v39, 0xffff0000, v67
	v_pack_b32_f16 v63, v56, v57
	scratch_load_dwordx4 v[56:59], off, off offset:16
	scratch_load_dwordx4 v[44:47], off, off offset:80
	v_cvt_f16_f32_e32 v65, v39
	v_cvt_f16_f32_e32 v66, v38
	v_pack_b32_f16 v67, v36, v37
	global_load_dwordx4 v[36:39], v[60:61], off offset:256
	v_pack_b32_f16 v158, v64, v62
	v_pack_b32_f16 v66, v66, v65
	s_waitcnt vmcnt(13)
	v_pk_fma_f16 v62, v170, v63, v140 op_sel_hi:[0,1,1]
	s_waitcnt vmcnt(12)
	v_pk_fma_f16 v140, v171, v63, v166 op_sel_hi:[0,1,1]
	v_pk_fma_f16 v63, v170, v67, v141 op_sel_hi:[0,1,1]
	;; [unrolled: 1-line block ×6, first 2 shown]
	scratch_store_dwordx4 off, v[62:65], off offset:48
	v_pk_fma_f16 v143, v171, v66, v169 op_sel_hi:[0,1,1]
	scratch_store_dwordx4 off, v[140:143], off offset:112
	ds_read_u16 v66, v156 offset:16
	ds_read_u16 v67, v157 offset:16
	s_waitcnt vmcnt(12)
	v_lshlrev_b32_e32 v62, 16, v40
	v_lshlrev_b32_e32 v158, 16, v42
	v_cvt_f16_f32_e32 v162, v62
	v_lshlrev_b32_e32 v62, 16, v41
	v_cvt_f16_f32_e32 v164, v158
	;; [unrolled: 2-line block ×3, first 2 shown]
	scratch_load_dwordx4 v[62:65], off, off offset:32
	scratch_load_dwordx4 v[140:143], off, off offset:96
	v_cvt_f16_f32_e32 v165, v158
	global_load_dwordx4 v[158:161], v[60:61], off offset:384
	v_and_b32_e32 v40, 0xffff0000, v40
	v_and_b32_e32 v41, 0xffff0000, v41
	;; [unrolled: 1-line block ×4, first 2 shown]
	v_cvt_f16_f32_e32 v40, v40
	v_cvt_f16_f32_e32 v41, v41
	;; [unrolled: 1-line block ×4, first 2 shown]
	v_pack_b32_f16 v60, v162, v40
	v_pack_b32_f16 v61, v163, v41
	;; [unrolled: 1-line block ×4, first 2 shown]
	s_waitcnt vmcnt(12) lgkmcnt(1)
	v_pk_fma_f16 v40, v66, v60, v52 op_sel_hi:[0,1,1]
	v_pk_fma_f16 v41, v66, v61, v53 op_sel_hi:[0,1,1]
	;; [unrolled: 1-line block ×4, first 2 shown]
	scratch_store_dwordx4 off, v[40:43], off
	s_waitcnt vmcnt(12) lgkmcnt(0)
	v_pk_fma_f16 v48, v67, v60, v48 op_sel_hi:[0,1,1]
	v_pk_fma_f16 v49, v67, v61, v49 op_sel_hi:[0,1,1]
	s_waitcnt vmcnt(11)
	v_lshlrev_b32_e32 v40, 16, v32
	v_and_b32_e32 v32, 0xffff0000, v32
	v_lshlrev_b32_e32 v41, 16, v33
	v_and_b32_e32 v33, 0xffff0000, v33
	v_cvt_f16_f32_e32 v32, v32
	v_cvt_f16_f32_e32 v40, v40
	;; [unrolled: 1-line block ×4, first 2 shown]
	v_lshlrev_b32_e32 v42, 16, v34
	v_and_b32_e32 v34, 0xffff0000, v34
	v_cvt_f16_f32_e32 v34, v34
	v_cvt_f16_f32_e32 v42, v42
	v_pk_fma_f16 v50, v67, v162, v50 op_sel_hi:[0,1,1]
	v_pk_fma_f16 v51, v67, v163, v51 op_sel_hi:[0,1,1]
	scratch_load_dwordx4 v[162:165], off, off offset:48
	scratch_load_dwordx4 v[166:169], off, off offset:112
	s_nop 0
	scratch_store_dwordx4 off, v[48:51], off offset:64
	s_nop 1
	v_pack_b32_f16 v48, v40, v32
	v_pack_b32_f16 v49, v41, v33
	v_lshlrev_b32_e32 v32, 16, v35
	v_and_b32_e32 v33, 0xffff0000, v35
	v_pack_b32_f16 v50, v42, v34
	v_cvt_f16_f32_e32 v34, v33
	v_cvt_f16_f32_e32 v35, v32
	v_lshl_add_u64 v[32:33], s[28:29], 0, v[124:125]
	v_lshl_add_u64 v[60:61], v[32:33], 0, v[106:107]
	global_load_dwordx4 v[40:43], v[60:61], off
	v_pack_b32_f16 v51, v35, v34
	s_waitcnt vmcnt(12)
	v_pk_fma_f16 v32, v66, v48, v56 op_sel_hi:[0,1,1]
	s_waitcnt vmcnt(11)
	v_pk_fma_f16 v44, v67, v48, v44 op_sel_hi:[0,1,1]
	v_pk_fma_f16 v33, v66, v49, v57 op_sel_hi:[0,1,1]
	v_pk_fma_f16 v34, v66, v50, v58 op_sel_hi:[0,1,1]
	v_pk_fma_f16 v35, v66, v51, v59 op_sel_hi:[0,1,1]
	s_waitcnt vmcnt(10)
	v_lshlrev_b32_e32 v48, 16, v36
	v_and_b32_e32 v36, 0xffff0000, v36
	v_cvt_f16_f32_e32 v36, v36
	v_cvt_f16_f32_e32 v48, v48
	scratch_store_dwordx4 off, v[32:35], off offset:16
	v_pk_fma_f16 v45, v67, v49, v45 op_sel_hi:[0,1,1]
	v_pk_fma_f16 v46, v67, v50, v46 op_sel_hi:[0,1,1]
	v_lshlrev_b32_e32 v32, 16, v37
	v_and_b32_e32 v33, 0xffff0000, v37
	v_cvt_f16_f32_e32 v33, v33
	v_cvt_f16_f32_e32 v32, v32
	v_pk_fma_f16 v47, v67, v51, v47 op_sel_hi:[0,1,1]
	v_lshlrev_b32_e32 v34, 16, v38
	v_and_b32_e32 v35, 0xffff0000, v38
	scratch_store_dwordx4 off, v[44:47], off offset:80
	v_cvt_f16_f32_e32 v37, v34
	v_lshlrev_b32_e32 v34, 16, v39
	v_pack_b32_f16 v44, v48, v36
	v_cvt_f16_f32_e32 v36, v35
	v_and_b32_e32 v35, 0xffff0000, v39
	scratch_load_dwordx4 v[52:55], off, off
	scratch_load_dwordx4 v[48:51], off, off offset:64
	v_cvt_f16_f32_e32 v38, v35
	v_cvt_f16_f32_e32 v39, v34
	v_pack_b32_f16 v45, v32, v33
	global_load_dwordx4 v[32:35], v[60:61], off offset:128
	v_pack_b32_f16 v46, v37, v36
	v_pack_b32_f16 v47, v39, v38
	s_waitcnt vmcnt(12)
	v_pk_fma_f16 v36, v66, v44, v62 op_sel_hi:[0,1,1]
	v_pk_fma_f16 v37, v66, v45, v63 op_sel_hi:[0,1,1]
	;; [unrolled: 1-line block ×4, first 2 shown]
	s_waitcnt vmcnt(10)
	v_lshlrev_b32_e32 v56, 16, v158
	v_and_b32_e32 v57, 0xffff0000, v158
	scratch_store_dwordx4 off, v[36:39], off offset:32
	v_cvt_f16_f32_e32 v57, v57
	v_cvt_f16_f32_e32 v56, v56
	v_lshlrev_b32_e32 v36, 16, v159
	v_and_b32_e32 v37, 0xffff0000, v159
	v_cvt_f16_f32_e32 v37, v37
	v_cvt_f16_f32_e32 v36, v36
	v_pk_fma_f16 v44, v67, v44, v140 op_sel_hi:[0,1,1]
	v_pk_fma_f16 v45, v67, v45, v141 op_sel_hi:[0,1,1]
	;; [unrolled: 1-line block ×4, first 2 shown]
	v_lshlrev_b32_e32 v38, 16, v160
	v_and_b32_e32 v39, 0xffff0000, v160
	scratch_store_dwordx4 off, v[44:47], off offset:96
	v_cvt_f16_f32_e32 v62, v39
	v_cvt_f16_f32_e32 v64, v38
	v_lshlrev_b32_e32 v38, 16, v161
	v_and_b32_e32 v39, 0xffff0000, v161
	v_pack_b32_f16 v63, v56, v57
	scratch_load_dwordx4 v[56:59], off, off offset:16
	scratch_load_dwordx4 v[44:47], off, off offset:80
	v_cvt_f16_f32_e32 v65, v39
	v_cvt_f16_f32_e32 v140, v38
	v_pack_b32_f16 v141, v36, v37
	global_load_dwordx4 v[36:39], v[60:61], off offset:256
	v_pack_b32_f16 v142, v64, v62
	v_pack_b32_f16 v143, v140, v65
	s_waitcnt vmcnt(13)
	v_pk_fma_f16 v62, v66, v63, v162 op_sel_hi:[0,1,1]
	s_waitcnt vmcnt(12)
	v_pk_fma_f16 v140, v67, v63, v166 op_sel_hi:[0,1,1]
	v_pk_fma_f16 v63, v66, v141, v163 op_sel_hi:[0,1,1]
	;; [unrolled: 1-line block ×6, first 2 shown]
	scratch_store_dwordx4 off, v[62:65], off offset:48
	v_pk_fma_f16 v143, v67, v143, v169 op_sel_hi:[0,1,1]
	scratch_store_dwordx4 off, v[140:143], off offset:112
	ds_read_u16 v66, v156 offset:24
	ds_read_u16 v67, v157 offset:24
	s_waitcnt vmcnt(12)
	v_lshlrev_b32_e32 v62, 16, v40
	v_lshlrev_b32_e32 v158, 16, v42
	v_cvt_f16_f32_e32 v162, v62
	v_lshlrev_b32_e32 v62, 16, v41
	v_cvt_f16_f32_e32 v164, v158
	v_lshlrev_b32_e32 v158, 16, v43
	v_and_b32_e32 v40, 0xffff0000, v40
	v_and_b32_e32 v41, 0xffff0000, v41
	v_cvt_f16_f32_e32 v163, v62
	v_and_b32_e32 v42, 0xffff0000, v42
	scratch_load_dwordx4 v[62:65], off, off offset:32
	scratch_load_dwordx4 v[140:143], off, off offset:96
	v_and_b32_e32 v43, 0xffff0000, v43
	v_cvt_f16_f32_e32 v165, v158
	global_load_dwordx4 v[158:161], v[60:61], off offset:384
	v_cvt_f16_f32_e32 v40, v40
	v_cvt_f16_f32_e32 v41, v41
	v_cvt_f16_f32_e32 v42, v42
	v_cvt_f16_f32_e32 v43, v43
	v_pack_b32_f16 v60, v162, v40
	v_pack_b32_f16 v61, v163, v41
	;; [unrolled: 1-line block ×4, first 2 shown]
	s_waitcnt vmcnt(12) lgkmcnt(1)
	v_pk_fma_f16 v40, v66, v60, v52 op_sel_hi:[0,1,1]
	v_pk_fma_f16 v41, v66, v61, v53 op_sel_hi:[0,1,1]
	;; [unrolled: 1-line block ×4, first 2 shown]
	scratch_store_dwordx4 off, v[40:43], off
	s_waitcnt vmcnt(12) lgkmcnt(0)
	v_pk_fma_f16 v48, v67, v60, v48 op_sel_hi:[0,1,1]
	v_pk_fma_f16 v49, v67, v61, v49 op_sel_hi:[0,1,1]
	s_waitcnt vmcnt(11)
	v_lshlrev_b32_e32 v40, 16, v32
	v_and_b32_e32 v32, 0xffff0000, v32
	v_lshlrev_b32_e32 v41, 16, v33
	v_and_b32_e32 v33, 0xffff0000, v33
	v_cvt_f16_f32_e32 v32, v32
	v_cvt_f16_f32_e32 v40, v40
	;; [unrolled: 1-line block ×4, first 2 shown]
	v_lshlrev_b32_e32 v42, 16, v34
	v_and_b32_e32 v34, 0xffff0000, v34
	v_cvt_f16_f32_e32 v34, v34
	v_cvt_f16_f32_e32 v42, v42
	v_pk_fma_f16 v50, v67, v162, v50 op_sel_hi:[0,1,1]
	v_pk_fma_f16 v51, v67, v163, v51 op_sel_hi:[0,1,1]
	scratch_load_dwordx4 v[162:165], off, off offset:48
	scratch_load_dwordx4 v[166:169], off, off offset:112
	s_nop 0
	scratch_store_dwordx4 off, v[48:51], off offset:64
	s_nop 1
	v_pack_b32_f16 v48, v40, v32
	v_pack_b32_f16 v49, v41, v33
	v_lshlrev_b32_e32 v32, 16, v35
	v_and_b32_e32 v33, 0xffff0000, v35
	v_pack_b32_f16 v50, v42, v34
	v_cvt_f16_f32_e32 v34, v33
	v_cvt_f16_f32_e32 v35, v32
	v_lshl_add_u64 v[32:33], s[28:29], 0, v[126:127]
	v_lshl_add_u64 v[60:61], v[32:33], 0, v[106:107]
	global_load_dwordx4 v[40:43], v[60:61], off
	v_pack_b32_f16 v51, v35, v34
	s_waitcnt vmcnt(12)
	v_pk_fma_f16 v32, v66, v48, v56 op_sel_hi:[0,1,1]
	s_waitcnt vmcnt(11)
	v_pk_fma_f16 v44, v67, v48, v44 op_sel_hi:[0,1,1]
	v_pk_fma_f16 v33, v66, v49, v57 op_sel_hi:[0,1,1]
	;; [unrolled: 1-line block ×4, first 2 shown]
	s_waitcnt vmcnt(10)
	v_lshlrev_b32_e32 v48, 16, v36
	v_and_b32_e32 v36, 0xffff0000, v36
	v_cvt_f16_f32_e32 v36, v36
	v_cvt_f16_f32_e32 v48, v48
	scratch_store_dwordx4 off, v[32:35], off offset:16
	v_pk_fma_f16 v45, v67, v49, v45 op_sel_hi:[0,1,1]
	v_pk_fma_f16 v46, v67, v50, v46 op_sel_hi:[0,1,1]
	v_lshlrev_b32_e32 v32, 16, v37
	v_and_b32_e32 v33, 0xffff0000, v37
	v_cvt_f16_f32_e32 v33, v33
	v_cvt_f16_f32_e32 v32, v32
	v_pk_fma_f16 v47, v67, v51, v47 op_sel_hi:[0,1,1]
	v_lshlrev_b32_e32 v34, 16, v38
	v_and_b32_e32 v35, 0xffff0000, v38
	scratch_store_dwordx4 off, v[44:47], off offset:80
	v_cvt_f16_f32_e32 v37, v34
	v_lshlrev_b32_e32 v34, 16, v39
	v_pack_b32_f16 v44, v48, v36
	v_cvt_f16_f32_e32 v36, v35
	v_and_b32_e32 v35, 0xffff0000, v39
	scratch_load_dwordx4 v[52:55], off, off
	scratch_load_dwordx4 v[48:51], off, off offset:64
	v_cvt_f16_f32_e32 v38, v35
	v_cvt_f16_f32_e32 v39, v34
	v_pack_b32_f16 v45, v32, v33
	global_load_dwordx4 v[32:35], v[60:61], off offset:128
	v_pack_b32_f16 v46, v37, v36
	v_pack_b32_f16 v47, v39, v38
	s_waitcnt vmcnt(12)
	v_pk_fma_f16 v36, v66, v44, v62 op_sel_hi:[0,1,1]
	v_pk_fma_f16 v37, v66, v45, v63 op_sel_hi:[0,1,1]
	v_pk_fma_f16 v38, v66, v46, v64 op_sel_hi:[0,1,1]
	v_pk_fma_f16 v39, v66, v47, v65 op_sel_hi:[0,1,1]
	s_waitcnt vmcnt(10)
	v_lshlrev_b32_e32 v56, 16, v158
	v_and_b32_e32 v57, 0xffff0000, v158
	scratch_store_dwordx4 off, v[36:39], off offset:32
	v_cvt_f16_f32_e32 v57, v57
	v_cvt_f16_f32_e32 v56, v56
	v_lshlrev_b32_e32 v36, 16, v159
	v_and_b32_e32 v37, 0xffff0000, v159
	v_cvt_f16_f32_e32 v37, v37
	v_cvt_f16_f32_e32 v36, v36
	v_pk_fma_f16 v44, v67, v44, v140 op_sel_hi:[0,1,1]
	v_pk_fma_f16 v45, v67, v45, v141 op_sel_hi:[0,1,1]
	;; [unrolled: 1-line block ×4, first 2 shown]
	v_lshlrev_b32_e32 v38, 16, v160
	v_and_b32_e32 v39, 0xffff0000, v160
	scratch_store_dwordx4 off, v[44:47], off offset:96
	v_cvt_f16_f32_e32 v62, v39
	v_cvt_f16_f32_e32 v64, v38
	v_lshlrev_b32_e32 v38, 16, v161
	v_and_b32_e32 v39, 0xffff0000, v161
	v_pack_b32_f16 v63, v56, v57
	scratch_load_dwordx4 v[56:59], off, off offset:16
	scratch_load_dwordx4 v[44:47], off, off offset:80
	v_cvt_f16_f32_e32 v65, v39
	v_cvt_f16_f32_e32 v140, v38
	v_pack_b32_f16 v141, v36, v37
	global_load_dwordx4 v[36:39], v[60:61], off offset:256
	v_pack_b32_f16 v142, v64, v62
	v_pack_b32_f16 v143, v140, v65
	s_waitcnt vmcnt(13)
	v_pk_fma_f16 v62, v66, v63, v162 op_sel_hi:[0,1,1]
	s_waitcnt vmcnt(12)
	v_pk_fma_f16 v140, v67, v63, v166 op_sel_hi:[0,1,1]
	v_pk_fma_f16 v63, v66, v141, v163 op_sel_hi:[0,1,1]
	;; [unrolled: 1-line block ×6, first 2 shown]
	scratch_store_dwordx4 off, v[62:65], off offset:48
	v_pk_fma_f16 v143, v67, v143, v169 op_sel_hi:[0,1,1]
	scratch_store_dwordx4 off, v[140:143], off offset:112
	ds_read_u16 v66, v156 offset:32
	ds_read_u16 v67, v156 offset:288
	s_waitcnt vmcnt(12)
	v_lshlrev_b32_e32 v62, 16, v40
	v_lshlrev_b32_e32 v158, 16, v42
	v_cvt_f16_f32_e32 v162, v62
	v_lshlrev_b32_e32 v62, 16, v41
	v_cvt_f16_f32_e32 v164, v158
	v_lshlrev_b32_e32 v158, 16, v43
	v_cvt_f16_f32_e32 v163, v62
	scratch_load_dwordx4 v[62:65], off, off offset:32
	scratch_load_dwordx4 v[140:143], off, off offset:96
	v_cvt_f16_f32_e32 v165, v158
	global_load_dwordx4 v[158:161], v[60:61], off offset:384
	v_and_b32_e32 v40, 0xffff0000, v40
	v_and_b32_e32 v41, 0xffff0000, v41
	;; [unrolled: 1-line block ×4, first 2 shown]
	v_cvt_f16_f32_e32 v40, v40
	v_cvt_f16_f32_e32 v41, v41
	;; [unrolled: 1-line block ×4, first 2 shown]
	v_pack_b32_f16 v60, v162, v40
	v_pack_b32_f16 v61, v163, v41
	v_pack_b32_f16 v162, v164, v42
	v_pack_b32_f16 v163, v165, v43
	s_waitcnt vmcnt(12) lgkmcnt(1)
	v_pk_fma_f16 v40, v66, v60, v52 op_sel_hi:[0,1,1]
	v_pk_fma_f16 v41, v66, v61, v53 op_sel_hi:[0,1,1]
	;; [unrolled: 1-line block ×4, first 2 shown]
	scratch_store_dwordx4 off, v[40:43], off
	s_waitcnt vmcnt(12) lgkmcnt(0)
	v_pk_fma_f16 v48, v67, v60, v48 op_sel_hi:[0,1,1]
	v_pk_fma_f16 v49, v67, v61, v49 op_sel_hi:[0,1,1]
	s_waitcnt vmcnt(11)
	v_lshlrev_b32_e32 v40, 16, v32
	v_and_b32_e32 v32, 0xffff0000, v32
	v_lshlrev_b32_e32 v41, 16, v33
	v_and_b32_e32 v33, 0xffff0000, v33
	v_cvt_f16_f32_e32 v32, v32
	v_cvt_f16_f32_e32 v40, v40
	;; [unrolled: 1-line block ×4, first 2 shown]
	v_lshlrev_b32_e32 v42, 16, v34
	v_and_b32_e32 v34, 0xffff0000, v34
	v_cvt_f16_f32_e32 v34, v34
	v_cvt_f16_f32_e32 v42, v42
	v_pk_fma_f16 v50, v67, v162, v50 op_sel_hi:[0,1,1]
	v_pk_fma_f16 v51, v67, v163, v51 op_sel_hi:[0,1,1]
	scratch_load_dwordx4 v[162:165], off, off offset:48
	scratch_load_dwordx4 v[166:169], off, off offset:112
	s_nop 0
	scratch_store_dwordx4 off, v[48:51], off offset:64
	s_nop 1
	v_pack_b32_f16 v48, v40, v32
	v_pack_b32_f16 v49, v41, v33
	v_lshlrev_b32_e32 v32, 16, v35
	v_and_b32_e32 v33, 0xffff0000, v35
	v_pack_b32_f16 v50, v42, v34
	v_cvt_f16_f32_e32 v34, v33
	v_cvt_f16_f32_e32 v35, v32
	v_lshl_add_u64 v[32:33], s[28:29], 0, v[128:129]
	v_lshl_add_u64 v[60:61], v[32:33], 0, v[106:107]
	global_load_dwordx4 v[40:43], v[60:61], off
	v_pack_b32_f16 v51, v35, v34
	s_waitcnt vmcnt(12)
	v_pk_fma_f16 v32, v66, v48, v56 op_sel_hi:[0,1,1]
	s_waitcnt vmcnt(11)
	v_pk_fma_f16 v44, v67, v48, v44 op_sel_hi:[0,1,1]
	v_pk_fma_f16 v33, v66, v49, v57 op_sel_hi:[0,1,1]
	;; [unrolled: 1-line block ×4, first 2 shown]
	s_waitcnt vmcnt(10)
	v_lshlrev_b32_e32 v48, 16, v36
	v_and_b32_e32 v36, 0xffff0000, v36
	v_cvt_f16_f32_e32 v36, v36
	v_cvt_f16_f32_e32 v48, v48
	scratch_store_dwordx4 off, v[32:35], off offset:16
	v_pk_fma_f16 v45, v67, v49, v45 op_sel_hi:[0,1,1]
	v_pk_fma_f16 v46, v67, v50, v46 op_sel_hi:[0,1,1]
	v_lshlrev_b32_e32 v32, 16, v37
	v_and_b32_e32 v33, 0xffff0000, v37
	v_cvt_f16_f32_e32 v33, v33
	v_cvt_f16_f32_e32 v32, v32
	v_pk_fma_f16 v47, v67, v51, v47 op_sel_hi:[0,1,1]
	v_lshlrev_b32_e32 v34, 16, v38
	v_and_b32_e32 v35, 0xffff0000, v38
	scratch_store_dwordx4 off, v[44:47], off offset:80
	v_cvt_f16_f32_e32 v37, v34
	v_lshlrev_b32_e32 v34, 16, v39
	v_pack_b32_f16 v44, v48, v36
	v_cvt_f16_f32_e32 v36, v35
	v_and_b32_e32 v35, 0xffff0000, v39
	scratch_load_dwordx4 v[52:55], off, off
	scratch_load_dwordx4 v[48:51], off, off offset:64
	v_cvt_f16_f32_e32 v38, v35
	v_cvt_f16_f32_e32 v39, v34
	v_pack_b32_f16 v45, v32, v33
	global_load_dwordx4 v[32:35], v[60:61], off offset:128
	v_pack_b32_f16 v46, v37, v36
	v_pack_b32_f16 v47, v39, v38
	s_waitcnt vmcnt(12)
	v_pk_fma_f16 v36, v66, v44, v62 op_sel_hi:[0,1,1]
	v_pk_fma_f16 v37, v66, v45, v63 op_sel_hi:[0,1,1]
	;; [unrolled: 1-line block ×4, first 2 shown]
	s_waitcnt vmcnt(10)
	v_lshlrev_b32_e32 v56, 16, v158
	v_and_b32_e32 v57, 0xffff0000, v158
	scratch_store_dwordx4 off, v[36:39], off offset:32
	v_cvt_f16_f32_e32 v57, v57
	v_cvt_f16_f32_e32 v56, v56
	v_lshlrev_b32_e32 v36, 16, v159
	v_and_b32_e32 v37, 0xffff0000, v159
	v_cvt_f16_f32_e32 v37, v37
	v_cvt_f16_f32_e32 v36, v36
	v_pk_fma_f16 v44, v67, v44, v140 op_sel_hi:[0,1,1]
	v_pk_fma_f16 v45, v67, v45, v141 op_sel_hi:[0,1,1]
	;; [unrolled: 1-line block ×4, first 2 shown]
	v_lshlrev_b32_e32 v38, 16, v160
	v_and_b32_e32 v39, 0xffff0000, v160
	scratch_store_dwordx4 off, v[44:47], off offset:96
	v_cvt_f16_f32_e32 v62, v39
	v_cvt_f16_f32_e32 v64, v38
	v_lshlrev_b32_e32 v38, 16, v161
	v_and_b32_e32 v39, 0xffff0000, v161
	v_pack_b32_f16 v63, v56, v57
	scratch_load_dwordx4 v[56:59], off, off offset:16
	scratch_load_dwordx4 v[44:47], off, off offset:80
	v_cvt_f16_f32_e32 v65, v39
	v_cvt_f16_f32_e32 v140, v38
	v_pack_b32_f16 v141, v36, v37
	global_load_dwordx4 v[36:39], v[60:61], off offset:256
	v_pack_b32_f16 v142, v64, v62
	v_pack_b32_f16 v143, v140, v65
	s_waitcnt vmcnt(13)
	v_pk_fma_f16 v62, v66, v63, v162 op_sel_hi:[0,1,1]
	s_waitcnt vmcnt(12)
	v_pk_fma_f16 v140, v67, v63, v166 op_sel_hi:[0,1,1]
	v_pk_fma_f16 v63, v66, v141, v163 op_sel_hi:[0,1,1]
	;; [unrolled: 1-line block ×6, first 2 shown]
	scratch_store_dwordx4 off, v[62:65], off offset:48
	v_pk_fma_f16 v143, v67, v143, v169 op_sel_hi:[0,1,1]
	scratch_store_dwordx4 off, v[140:143], off offset:112
	ds_read_u16 v66, v156 offset:40
	ds_read_u16 v67, v157 offset:40
	s_waitcnt vmcnt(12)
	v_lshlrev_b32_e32 v62, 16, v40
	v_lshlrev_b32_e32 v158, 16, v42
	v_cvt_f16_f32_e32 v162, v62
	v_lshlrev_b32_e32 v62, 16, v41
	v_cvt_f16_f32_e32 v164, v158
	;; [unrolled: 2-line block ×3, first 2 shown]
	scratch_load_dwordx4 v[62:65], off, off offset:32
	scratch_load_dwordx4 v[140:143], off, off offset:96
	v_cvt_f16_f32_e32 v165, v158
	global_load_dwordx4 v[158:161], v[60:61], off offset:384
	v_and_b32_e32 v40, 0xffff0000, v40
	v_and_b32_e32 v41, 0xffff0000, v41
	;; [unrolled: 1-line block ×4, first 2 shown]
	v_cvt_f16_f32_e32 v40, v40
	v_cvt_f16_f32_e32 v41, v41
	;; [unrolled: 1-line block ×4, first 2 shown]
	v_pack_b32_f16 v60, v162, v40
	v_pack_b32_f16 v61, v163, v41
	;; [unrolled: 1-line block ×4, first 2 shown]
	s_waitcnt vmcnt(12) lgkmcnt(1)
	v_pk_fma_f16 v40, v66, v60, v52 op_sel_hi:[0,1,1]
	v_pk_fma_f16 v41, v66, v61, v53 op_sel_hi:[0,1,1]
	;; [unrolled: 1-line block ×4, first 2 shown]
	scratch_store_dwordx4 off, v[40:43], off
	s_waitcnt vmcnt(12) lgkmcnt(0)
	v_pk_fma_f16 v48, v67, v60, v48 op_sel_hi:[0,1,1]
	v_pk_fma_f16 v49, v67, v61, v49 op_sel_hi:[0,1,1]
	s_waitcnt vmcnt(11)
	v_lshlrev_b32_e32 v40, 16, v32
	v_and_b32_e32 v32, 0xffff0000, v32
	v_lshlrev_b32_e32 v41, 16, v33
	v_and_b32_e32 v33, 0xffff0000, v33
	v_cvt_f16_f32_e32 v32, v32
	v_cvt_f16_f32_e32 v40, v40
	;; [unrolled: 1-line block ×4, first 2 shown]
	v_lshlrev_b32_e32 v42, 16, v34
	v_and_b32_e32 v34, 0xffff0000, v34
	v_cvt_f16_f32_e32 v34, v34
	v_cvt_f16_f32_e32 v42, v42
	v_pk_fma_f16 v50, v67, v162, v50 op_sel_hi:[0,1,1]
	v_pk_fma_f16 v51, v67, v163, v51 op_sel_hi:[0,1,1]
	scratch_load_dwordx4 v[162:165], off, off offset:48
	scratch_load_dwordx4 v[166:169], off, off offset:112
	s_nop 0
	scratch_store_dwordx4 off, v[48:51], off offset:64
	s_nop 1
	v_pack_b32_f16 v48, v40, v32
	v_pack_b32_f16 v49, v41, v33
	v_lshlrev_b32_e32 v32, 16, v35
	v_and_b32_e32 v33, 0xffff0000, v35
	v_pack_b32_f16 v50, v42, v34
	v_cvt_f16_f32_e32 v34, v33
	v_cvt_f16_f32_e32 v35, v32
	v_lshl_add_u64 v[32:33], s[28:29], 0, v[130:131]
	v_lshl_add_u64 v[60:61], v[32:33], 0, v[106:107]
	global_load_dwordx4 v[40:43], v[60:61], off
	v_pack_b32_f16 v51, v35, v34
	s_waitcnt vmcnt(12)
	v_pk_fma_f16 v32, v66, v48, v56 op_sel_hi:[0,1,1]
	s_waitcnt vmcnt(11)
	v_pk_fma_f16 v44, v67, v48, v44 op_sel_hi:[0,1,1]
	v_pk_fma_f16 v33, v66, v49, v57 op_sel_hi:[0,1,1]
	;; [unrolled: 1-line block ×4, first 2 shown]
	s_waitcnt vmcnt(10)
	v_lshlrev_b32_e32 v48, 16, v36
	v_and_b32_e32 v36, 0xffff0000, v36
	v_cvt_f16_f32_e32 v36, v36
	v_cvt_f16_f32_e32 v48, v48
	scratch_store_dwordx4 off, v[32:35], off offset:16
	v_pk_fma_f16 v45, v67, v49, v45 op_sel_hi:[0,1,1]
	v_pk_fma_f16 v46, v67, v50, v46 op_sel_hi:[0,1,1]
	v_lshlrev_b32_e32 v32, 16, v37
	v_and_b32_e32 v33, 0xffff0000, v37
	v_cvt_f16_f32_e32 v33, v33
	v_cvt_f16_f32_e32 v32, v32
	v_pk_fma_f16 v47, v67, v51, v47 op_sel_hi:[0,1,1]
	v_lshlrev_b32_e32 v34, 16, v38
	v_and_b32_e32 v35, 0xffff0000, v38
	scratch_store_dwordx4 off, v[44:47], off offset:80
	v_cvt_f16_f32_e32 v37, v34
	v_lshlrev_b32_e32 v34, 16, v39
	v_pack_b32_f16 v44, v48, v36
	v_cvt_f16_f32_e32 v36, v35
	v_and_b32_e32 v35, 0xffff0000, v39
	scratch_load_dwordx4 v[52:55], off, off
	scratch_load_dwordx4 v[48:51], off, off offset:64
	v_cvt_f16_f32_e32 v38, v35
	v_cvt_f16_f32_e32 v39, v34
	v_pack_b32_f16 v45, v32, v33
	global_load_dwordx4 v[32:35], v[60:61], off offset:128
	s_waitcnt vmcnt(10)
	v_lshlrev_b32_e32 v56, 16, v158
	v_and_b32_e32 v57, 0xffff0000, v158
	v_cvt_f16_f32_e32 v57, v57
	v_cvt_f16_f32_e32 v56, v56
	v_pack_b32_f16 v46, v37, v36
	v_pack_b32_f16 v47, v39, v38
	v_pk_fma_f16 v36, v66, v44, v62 op_sel_hi:[0,1,1]
	v_pk_fma_f16 v44, v67, v44, v140 op_sel_hi:[0,1,1]
	;; [unrolled: 1-line block ×8, first 2 shown]
	scratch_store_dwordx4 off, v[36:39], off offset:32
	scratch_store_dwordx4 off, v[44:47], off offset:96
	v_pack_b32_f16 v63, v56, v57
	scratch_load_dwordx4 v[56:59], off, off offset:16
	scratch_load_dwordx4 v[44:47], off, off offset:80
	v_lshlrev_b32_e32 v36, 16, v159
	v_and_b32_e32 v37, 0xffff0000, v159
	v_cvt_f16_f32_e32 v37, v37
	v_cvt_f16_f32_e32 v36, v36
	v_lshlrev_b32_e32 v38, 16, v160
	v_and_b32_e32 v39, 0xffff0000, v160
	v_cvt_f16_f32_e32 v62, v39
	v_cvt_f16_f32_e32 v64, v38
	;; [unrolled: 4-line block ×3, first 2 shown]
	v_pack_b32_f16 v141, v36, v37
	global_load_dwordx4 v[36:39], v[60:61], off offset:256
	v_pack_b32_f16 v142, v64, v62
	v_pack_b32_f16 v143, v140, v65
	s_waitcnt vmcnt(13)
	v_pk_fma_f16 v62, v66, v63, v162 op_sel_hi:[0,1,1]
	s_waitcnt vmcnt(12)
	v_pk_fma_f16 v140, v67, v63, v166 op_sel_hi:[0,1,1]
	v_pk_fma_f16 v63, v66, v141, v163 op_sel_hi:[0,1,1]
	;; [unrolled: 1-line block ×4, first 2 shown]
	scratch_store_dwordx4 off, v[62:65], off offset:48
	v_pk_fma_f16 v141, v67, v141, v167 op_sel_hi:[0,1,1]
	v_pk_fma_f16 v142, v67, v142, v168 op_sel_hi:[0,1,1]
	;; [unrolled: 1-line block ×3, first 2 shown]
	scratch_store_dwordx4 off, v[140:143], off offset:112
	ds_read_u16 v66, v156 offset:48
	ds_read_u16 v67, v157 offset:48
	s_waitcnt vmcnt(12)
	v_lshlrev_b32_e32 v62, 16, v40
	v_lshlrev_b32_e32 v158, 16, v42
	v_and_b32_e32 v40, 0xffff0000, v40
	v_cvt_f16_f32_e32 v162, v62
	v_lshlrev_b32_e32 v62, 16, v41
	v_and_b32_e32 v41, 0xffff0000, v41
	v_and_b32_e32 v42, 0xffff0000, v42
	v_cvt_f16_f32_e32 v164, v158
	v_lshlrev_b32_e32 v158, 16, v43
	v_and_b32_e32 v43, 0xffff0000, v43
	v_cvt_f16_f32_e32 v40, v40
	v_cvt_f16_f32_e32 v41, v41
	;; [unrolled: 1-line block ×6, first 2 shown]
	scratch_load_dwordx4 v[62:65], off, off offset:32
	scratch_load_dwordx4 v[140:143], off, off offset:96
	global_load_dwordx4 v[158:161], v[60:61], off offset:384
	v_pack_b32_f16 v60, v162, v40
	v_pack_b32_f16 v61, v163, v41
	;; [unrolled: 1-line block ×4, first 2 shown]
	s_waitcnt vmcnt(12) lgkmcnt(1)
	v_pk_fma_f16 v40, v66, v60, v52 op_sel_hi:[0,1,1]
	v_pk_fma_f16 v41, v66, v61, v53 op_sel_hi:[0,1,1]
	;; [unrolled: 1-line block ×4, first 2 shown]
	scratch_store_dwordx4 off, v[40:43], off
	s_waitcnt vmcnt(12) lgkmcnt(0)
	v_pk_fma_f16 v48, v67, v60, v48 op_sel_hi:[0,1,1]
	v_pk_fma_f16 v49, v67, v61, v49 op_sel_hi:[0,1,1]
	s_waitcnt vmcnt(11)
	v_lshlrev_b32_e32 v40, 16, v32
	v_and_b32_e32 v32, 0xffff0000, v32
	v_lshlrev_b32_e32 v41, 16, v33
	v_and_b32_e32 v33, 0xffff0000, v33
	v_cvt_f16_f32_e32 v32, v32
	v_cvt_f16_f32_e32 v40, v40
	;; [unrolled: 1-line block ×4, first 2 shown]
	v_lshlrev_b32_e32 v42, 16, v34
	v_and_b32_e32 v34, 0xffff0000, v34
	v_cvt_f16_f32_e32 v34, v34
	v_cvt_f16_f32_e32 v42, v42
	v_pack_b32_f16 v40, v40, v32
	v_pack_b32_f16 v41, v41, v33
	v_lshlrev_b32_e32 v32, 16, v35
	v_and_b32_e32 v33, 0xffff0000, v35
	v_pack_b32_f16 v42, v42, v34
	v_cvt_f16_f32_e32 v34, v33
	v_cvt_f16_f32_e32 v35, v32
	v_lshl_add_u64 v[32:33], s[28:29], 0, v[132:133]
	v_pk_fma_f16 v50, v67, v162, v50 op_sel_hi:[0,1,1]
	v_pk_fma_f16 v51, v67, v163, v51 op_sel_hi:[0,1,1]
	scratch_load_dwordx4 v[162:165], off, off offset:48
	scratch_load_dwordx4 v[166:169], off, off offset:112
	v_lshl_add_u64 v[60:61], v[32:33], 0, v[106:107]
	scratch_store_dwordx4 off, v[48:51], off offset:64
	global_load_dwordx4 v[48:51], v[60:61], off
	v_pack_b32_f16 v43, v35, v34
	s_waitcnt vmcnt(12)
	v_pk_fma_f16 v32, v66, v40, v56 op_sel_hi:[0,1,1]
	s_waitcnt vmcnt(11)
	v_pk_fma_f16 v40, v67, v40, v44 op_sel_hi:[0,1,1]
	v_pk_fma_f16 v33, v66, v41, v57 op_sel_hi:[0,1,1]
	;; [unrolled: 1-line block ×7, first 2 shown]
	scratch_store_dwordx4 off, v[32:35], off offset:16
	scratch_store_dwordx4 off, v[40:43], off offset:80
	scratch_load_dwordx4 v[56:59], off, off
	scratch_load_dwordx4 v[52:55], off, off offset:64
	s_waitcnt vmcnt(14)
	v_lshlrev_b32_e32 v44, 16, v36
	v_and_b32_e32 v36, 0xffff0000, v36
	v_cvt_f16_f32_e32 v36, v36
	v_cvt_f16_f32_e32 v44, v44
	v_lshlrev_b32_e32 v32, 16, v37
	v_and_b32_e32 v33, 0xffff0000, v37
	v_lshlrev_b32_e32 v34, 16, v38
	v_pack_b32_f16 v40, v44, v36
	v_and_b32_e32 v35, 0xffff0000, v38
	v_lshlrev_b32_e32 v36, 16, v39
	v_and_b32_e32 v37, 0xffff0000, v39
	v_cvt_f16_f32_e32 v33, v33
	v_cvt_f16_f32_e32 v32, v32
	;; [unrolled: 1-line block ×6, first 2 shown]
	v_pack_b32_f16 v38, v32, v33
	v_pack_b32_f16 v39, v34, v35
	global_load_dwordx4 v[32:35], v[60:61], off offset:128
	v_pack_b32_f16 v43, v36, v37
	s_add_u32 s28, s28, s23
	s_addc_u32 s29, s29, 0
	s_lshl_b64 s[12:13], s[24:25], 1
	s_waitcnt vmcnt(12)
	v_pk_fma_f16 v36, v66, v40, v62 op_sel_hi:[0,1,1]
	v_pk_fma_f16 v37, v66, v38, v63 op_sel_hi:[0,1,1]
	s_waitcnt vmcnt(11)
	v_pk_fma_f16 v41, v67, v38, v141 op_sel_hi:[0,1,1]
	v_pk_fma_f16 v38, v66, v39, v64 op_sel_hi:[0,1,1]
	;; [unrolled: 1-line block ×4, first 2 shown]
	s_waitcnt vmcnt(10)
	v_lshlrev_b32_e32 v44, 16, v158
	v_and_b32_e32 v45, 0xffff0000, v158
	scratch_store_dwordx4 off, v[36:39], off offset:32
	v_cvt_f16_f32_e32 v45, v45
	v_cvt_f16_f32_e32 v44, v44
	v_lshlrev_b32_e32 v36, 16, v159
	v_and_b32_e32 v37, 0xffff0000, v159
	v_cvt_f16_f32_e32 v37, v37
	v_cvt_f16_f32_e32 v36, v36
	v_lshlrev_b32_e32 v38, 16, v160
	v_and_b32_e32 v39, 0xffff0000, v160
	v_pk_fma_f16 v40, v67, v40, v140 op_sel_hi:[0,1,1]
	v_pk_fma_f16 v43, v67, v43, v143 op_sel_hi:[0,1,1]
	v_cvt_f16_f32_e32 v62, v39
	v_cvt_f16_f32_e32 v64, v38
	v_lshlrev_b32_e32 v38, 16, v161
	v_and_b32_e32 v39, 0xffff0000, v161
	scratch_store_dwordx4 off, v[40:43], off offset:96
	v_cvt_f16_f32_e32 v65, v39
	v_cvt_f16_f32_e32 v140, v38
	v_pack_b32_f16 v63, v44, v45
	scratch_load_dwordx4 v[44:47], off, off offset:16
	scratch_load_dwordx4 v[40:43], off, off offset:80
	v_pack_b32_f16 v141, v36, v37
	global_load_dwordx4 v[36:39], v[60:61], off offset:256
	v_pack_b32_f16 v142, v64, v62
	v_pack_b32_f16 v143, v140, v65
	s_add_u32 s26, s26, s12
	s_addc_u32 s27, s27, s13
	s_cmp_ge_i32 s22, s21
	s_waitcnt vmcnt(13)
	v_pk_fma_f16 v62, v66, v63, v162 op_sel_hi:[0,1,1]
	s_waitcnt vmcnt(12)
	v_pk_fma_f16 v140, v67, v63, v166 op_sel_hi:[0,1,1]
	v_pk_fma_f16 v63, v66, v141, v163 op_sel_hi:[0,1,1]
	;; [unrolled: 1-line block ×7, first 2 shown]
	scratch_store_dwordx4 off, v[62:65], off offset:48
	scratch_store_dwordx4 off, v[140:143], off offset:112
	s_waitcnt vmcnt(12)
	v_lshlrev_b32_e32 v66, 16, v50
	v_lshlrev_b32_e32 v64, 16, v48
	v_and_b32_e32 v48, 0xffff0000, v48
	v_lshlrev_b32_e32 v65, 16, v49
	v_and_b32_e32 v49, 0xffff0000, v49
	v_and_b32_e32 v50, 0xffff0000, v50
	v_lshlrev_b32_e32 v67, 16, v51
	v_and_b32_e32 v51, 0xffff0000, v51
	ds_read_u16 v63, v156 offset:56
	ds_read_u16 v62, v157 offset:56
	v_cvt_f16_f32_e32 v48, v48
	v_cvt_f16_f32_e32 v64, v64
	scratch_load_dwordx4 v[140:143], off, off offset:32
	scratch_load_dwordx4 v[158:161], off, off offset:96
	v_cvt_f16_f32_e32 v49, v49
	v_cvt_f16_f32_e32 v65, v65
	;; [unrolled: 1-line block ×4, first 2 shown]
	global_load_dwordx4 v[162:165], v[60:61], off offset:384
	v_cvt_f16_f32_e32 v51, v51
	v_cvt_f16_f32_e32 v60, v67
	v_pack_b32_f16 v61, v64, v48
	v_pack_b32_f16 v64, v65, v49
	;; [unrolled: 1-line block ×4, first 2 shown]
	s_waitcnt vmcnt(12) lgkmcnt(1)
	v_pk_fma_f16 v48, v63, v61, v56 op_sel_hi:[0,1,1]
	s_waitcnt vmcnt(11) lgkmcnt(0)
	v_pk_fma_f16 v52, v62, v61, v52 op_sel_hi:[0,1,1]
	v_pk_fma_f16 v49, v63, v64, v57 op_sel_hi:[0,1,1]
	v_pk_fma_f16 v53, v62, v64, v53 op_sel_hi:[0,1,1]
	v_pk_fma_f16 v50, v63, v65, v58 op_sel_hi:[0,1,1]
	v_pk_fma_f16 v54, v62, v65, v54 op_sel_hi:[0,1,1]
	v_pk_fma_f16 v51, v63, v60, v59 op_sel_hi:[0,1,1]
	v_pk_fma_f16 v55, v62, v60, v55 op_sel_hi:[0,1,1]
	scratch_store_dwordx4 off, v[48:51], off
	scratch_store_dwordx4 off, v[52:55], off offset:64
	scratch_load_dwordx4 v[48:51], off, off offset:48
	s_nop 0
	scratch_load_dwordx4 v[52:55], off, off offset:112
	s_waitcnt vmcnt(14)
	v_lshlrev_b32_e32 v56, 16, v32
	v_and_b32_e32 v32, 0xffff0000, v32
	v_lshlrev_b32_e32 v57, 16, v33
	v_and_b32_e32 v33, 0xffff0000, v33
	;; [unrolled: 2-line block ×4, first 2 shown]
	v_cvt_f16_f32_e32 v32, v32
	v_cvt_f16_f32_e32 v56, v56
	;; [unrolled: 1-line block ×8, first 2 shown]
	v_pack_b32_f16 v56, v56, v32
	v_pack_b32_f16 v57, v57, v33
	;; [unrolled: 1-line block ×4, first 2 shown]
	s_waitcnt vmcnt(11)
	v_pk_fma_f16 v32, v63, v56, v44 op_sel_hi:[0,1,1]
	v_pk_fma_f16 v33, v63, v57, v45 op_sel_hi:[0,1,1]
	;; [unrolled: 1-line block ×4, first 2 shown]
	scratch_store_dwordx4 off, v[32:35], off offset:16
	s_waitcnt vmcnt(11)
	v_pk_fma_f16 v40, v62, v56, v40 op_sel_hi:[0,1,1]
	v_pk_fma_f16 v41, v62, v57, v41 op_sel_hi:[0,1,1]
	s_waitcnt vmcnt(10)
	v_lshlrev_b32_e32 v32, 16, v36
	v_and_b32_e32 v33, 0xffff0000, v36
	v_lshlrev_b32_e32 v34, 16, v37
	v_and_b32_e32 v35, 0xffff0000, v37
	;; [unrolled: 2-line block ×4, first 2 shown]
	v_cvt_f16_f32_e32 v33, v33
	v_cvt_f16_f32_e32 v32, v32
	v_cvt_f16_f32_e32 v35, v35
	v_cvt_f16_f32_e32 v34, v34
	v_cvt_f16_f32_e32 v37, v37
	v_cvt_f16_f32_e32 v36, v36
	v_cvt_f16_f32_e32 v39, v39
	v_cvt_f16_f32_e32 v38, v38
	v_pack_b32_f16 v33, v32, v33
	v_pack_b32_f16 v34, v34, v35
	v_pack_b32_f16 v35, v36, v37
	v_pack_b32_f16 v39, v38, v39
	v_pk_fma_f16 v42, v62, v58, v42 op_sel_hi:[0,1,1]
	v_pk_fma_f16 v43, v62, v59, v43 op_sel_hi:[0,1,1]
	scratch_store_dwordx4 off, v[40:43], off offset:80
	s_waitcnt vmcnt(8)
	v_pk_fma_f16 v32, v63, v33, v140 op_sel_hi:[0,1,1]
	s_waitcnt vmcnt(7)
	v_pk_fma_f16 v36, v62, v33, v158 op_sel_hi:[0,1,1]
	v_pk_fma_f16 v33, v63, v34, v141 op_sel_hi:[0,1,1]
	;; [unrolled: 1-line block ×7, first 2 shown]
	scratch_store_dwordx4 off, v[32:35], off offset:32
	scratch_store_dwordx4 off, v[36:39], off offset:96
	v_mov_b32_e32 v140, v138
	s_waitcnt vmcnt(8)
	v_lshlrev_b32_e32 v32, 16, v162
	v_and_b32_e32 v33, 0xffff0000, v162
	v_lshlrev_b32_e32 v34, 16, v163
	v_and_b32_e32 v35, 0xffff0000, v163
	;; [unrolled: 2-line block ×4, first 2 shown]
	v_cvt_f16_f32_e32 v33, v33
	v_cvt_f16_f32_e32 v32, v32
	;; [unrolled: 1-line block ×8, first 2 shown]
	v_pack_b32_f16 v33, v32, v33
	v_pack_b32_f16 v34, v34, v35
	;; [unrolled: 1-line block ×4, first 2 shown]
	s_waitcnt vmcnt(5)
	v_pk_fma_f16 v32, v63, v33, v48 op_sel_hi:[0,1,1]
	s_waitcnt vmcnt(4)
	v_pk_fma_f16 v36, v62, v33, v52 op_sel_hi:[0,1,1]
	v_pk_fma_f16 v33, v63, v34, v49 op_sel_hi:[0,1,1]
	;; [unrolled: 1-line block ×7, first 2 shown]
	v_mov_b32_e32 v141, v139
	scratch_store_dwordx4 off, v[32:35], off offset:48
	scratch_store_dwordx4 off, v[36:39], off offset:112
	s_cbranch_scc1 .LBB28_38
.LBB28_22:                              ; =>This Inner Loop Header: Depth=1
	v_lshl_add_u64 v[32:33], s[30:31], 0, v[108:109]
	v_lshl_add_u64 v[34:35], v[32:33], 0, v[104:105]
	global_load_dword v36, v[34:35], off offset:2
	global_load_dword v37, v[34:35], off offset:20
	;; [unrolled: 1-line block ×7, first 2 shown]
	s_nop 0
	global_load_dword v34, v[34:35], off offset:128
	s_nop 0
	global_load_ushort v40, v[32:33], off
	global_load_ushort v41, v[32:33], off offset:18
	global_load_ushort v42, v[32:33], off offset:36
	;; [unrolled: 1-line block ×7, first 2 shown]
	v_mov_b32_e32 v58, 0
	v_mov_b32_e32 v59, 0
	;; [unrolled: 1-line block ×12, first 2 shown]
	s_and_b64 vcc, exec, s[34:35]
	s_waitcnt vmcnt(15)
	v_and_b32_e32 v55, 0xf0f0f0f, v36
	v_lshrrev_b32_e32 v33, 4, v36
	v_and_b32_e32 v57, 0xf0f0f0f, v33
	v_dot4c_i32_i8_e32 v58, v55, v70
	s_waitcnt vmcnt(14)
	v_and_b32_e32 v52, 0xf0f0f0f, v37
	v_lshrrev_b32_e32 v36, 4, v37
	v_dot4c_i32_i8_e32 v59, v57, v71
	s_waitcnt vmcnt(8)
	v_and_b32_e32 v32, 0xf0f0f0f, v34
	v_lshrrev_b32_e32 v34, 4, v34
	v_and_b32_e32 v33, 0xf0f0f0f, v34
	v_cvt_f32_i32_e32 v34, v58
	v_and_b32_e32 v54, 0xf0f0f0f, v36
	v_dot4c_i32_i8_e32 v60, v52, v72
	v_cvt_f32_i32_e32 v59, v59
	v_and_b32_e32 v50, 0xf0f0f0f, v38
	v_lshrrev_b32_e32 v37, 4, v38
	v_cvt_f32_i32_e32 v36, v60
	v_dot4c_i32_i8_e32 v61, v54, v73
	v_and_b32_e32 v35, 0xf0f0f0f, v51
	v_lshrrev_b32_e32 v143, 4, v51
	v_and_b32_e32 v51, 0xf0f0f0f, v37
	v_dot4c_i32_i8_e32 v62, v50, v74
	v_cvt_f32_i32_e32 v61, v61
	v_and_b32_e32 v48, 0xf0f0f0f, v39
	v_lshrrev_b32_e32 v39, 4, v39
	v_cvt_f32_i32_e32 v58, v62
	v_dot4c_i32_i8_e32 v63, v51, v75
	v_fma_f32 v34, v0, v34, -v1
	v_and_b32_e32 v38, 0xf0f0f0f, v49
	v_lshrrev_b32_e32 v142, 4, v49
	v_and_b32_e32 v49, 0xf0f0f0f, v39
	v_dot4c_i32_i8_e32 v64, v48, v76
	v_cvt_f32_i32_e32 v63, v63
	s_waitcnt vmcnt(7)
	v_fma_mix_f32 v34, v34, v40, 0 op_sel_hi:[0,1,0]
	v_fma_f32 v59, v0, v59, -v1
	v_and_b32_e32 v43, 0xf0f0f0f, v45
	v_lshrrev_b32_e32 v45, 4, v45
	v_cvt_f32_i32_e32 v60, v64
	v_dot4c_i32_i8_e32 v65, v49, v77
	v_fma_f32 v36, v2, v36, -v3
	v_fma_mix_f32 v34, v59, v40, v34 op_sel_hi:[0,1,0]
	v_and_b32_e32 v45, 0xf0f0f0f, v45
	v_dot4c_i32_i8_e32 v66, v43, v78
	v_cvt_f32_i32_e32 v65, v65
	v_fma_f32 v61, v2, v61, -v3
	s_waitcnt vmcnt(6)
	v_fma_mix_f32 v34, v36, v41, v34 op_sel_hi:[0,1,0]
	v_cvt_f32_i32_e32 v62, v66
	v_dot4c_i32_i8_e32 v67, v45, v79
	v_fma_f32 v58, v4, v58, -v5
	v_fma_mix_f32 v34, v61, v41, v34 op_sel_hi:[0,1,0]
	v_and_b32_e32 v39, 0xf0f0f0f, v142
	v_dot4c_i32_i8_e32 v138, v38, v80
	v_cvt_f32_i32_e32 v66, v67
	v_fma_f32 v63, v4, v63, -v5
	s_waitcnt vmcnt(5)
	v_fma_mix_f32 v34, v58, v42, v34 op_sel_hi:[0,1,0]
	v_cvt_f32_i32_e32 v64, v138
	v_dot4c_i32_i8_e32 v139, v39, v81
	v_fma_f32 v60, v6, v60, -v7
	v_fma_mix_f32 v34, v63, v42, v34 op_sel_hi:[0,1,0]
	v_mov_b32_e32 v58, 0
	v_and_b32_e32 v37, 0xf0f0f0f, v143
	v_cvt_f32_i32_e32 v67, v139
	v_fma_f32 v65, v6, v65, -v7
	s_waitcnt vmcnt(4)
	v_fma_mix_f32 v34, v60, v44, v34 op_sel_hi:[0,1,0]
	v_dot4c_i32_i8_e32 v58, v35, v82
	v_mov_b32_e32 v59, 0
	v_fma_f32 v62, v8, v62, -v9
	v_fma_mix_f32 v34, v65, v44, v34 op_sel_hi:[0,1,0]
	v_cvt_f32_i32_e32 v58, v58
	v_dot4c_i32_i8_e32 v59, v37, v83
	v_fma_f32 v66, v8, v66, -v9
	s_waitcnt vmcnt(3)
	v_fma_mix_f32 v34, v62, v46, v34 op_sel_hi:[0,1,0]
	v_fma_f32 v64, v10, v64, -v11
	v_cvt_f32_i32_e32 v59, v59
	v_fma_mix_f32 v34, v66, v46, v34 op_sel_hi:[0,1,0]
	s_waitcnt vmcnt(2)
	v_fma_mix_f32 v34, v64, v47, v34 op_sel_hi:[0,1,0]
	v_fma_f32 v36, v10, v67, -v11
	v_fma_mix_f32 v34, v36, v47, v34 op_sel_hi:[0,1,0]
	v_fma_f32 v36, v12, v58, -v13
	v_mov_b32_e32 v58, 0
	s_waitcnt vmcnt(1)
	v_fma_mix_f32 v34, v36, v56, v34 op_sel_hi:[0,1,0]
	v_fma_f32 v36, v12, v59, -v13
	v_dot4c_i32_i8_e32 v58, v32, v84
	v_mov_b32_e32 v59, 0
	v_dot4c_i32_i8_e32 v59, v33, v85
	v_fma_mix_f32 v34, v36, v56, v34 op_sel_hi:[0,1,0]
	v_cvt_f32_i32_e32 v58, v58
	v_fma_f32 v36, v14, v58, -v15
	v_cvt_f32_i32_e32 v59, v59
	s_waitcnt vmcnt(0)
	v_fma_mix_f32 v34, v36, v53, v34 op_sel_hi:[0,1,0]
	v_fma_f32 v36, v14, v59, -v15
	v_fma_mix_f32 v34, v36, v53, v34 op_sel_hi:[0,1,0]
	ds_bpermute_b32 v36, v151, v34
	s_waitcnt lgkmcnt(0)
	v_add_f32_e32 v34, v34, v36
	ds_bpermute_b32 v36, v152, v34
	s_waitcnt lgkmcnt(0)
	v_add_f32_e32 v34, v34, v36
	v_lshlrev_b32_e32 v36, 1, v102
	s_cbranch_vccz .LBB28_24
; %bb.23:                               ;   in Loop: Header=BB28_22 Depth=1
	global_load_ushort v58, v36, s[26:27]
	s_waitcnt vmcnt(0)
	v_fma_mix_f32 v34, v149, v58, v34 op_sel_hi:[0,1,0]
.LBB28_24:                              ;   in Loop: Header=BB28_22 Depth=1
	v_mov_b32_e32 v58, 0
	v_dot4c_i32_i8_e32 v58, v55, v86
	v_cvt_f32_f16_e32 v40, v40
	v_cvt_f32_f16_e32 v41, v41
	;; [unrolled: 1-line block ×3, first 2 shown]
	v_cvt_f32_i32_e32 v55, v58
	v_mov_b32_e32 v58, 0
	v_dot4c_i32_i8_e32 v58, v57, v87
	v_cvt_f32_f16_e32 v44, v44
	v_fma_f32 v55, v16, v55, -v17
	v_fma_f32 v55, v55, v40, 0
	v_cvt_f32_i32_e32 v57, v58
	v_mov_b32_e32 v58, 0
	v_dot4c_i32_i8_e32 v58, v52, v88
	v_cvt_f32_f16_e32 v46, v46
	v_fma_f32 v57, v16, v57, -v17
	v_fmac_f32_e32 v55, v57, v40
	v_cvt_f32_i32_e32 v52, v58
	v_mov_b32_e32 v58, 0
	v_dot4c_i32_i8_e32 v58, v54, v89
	v_cvt_f32_f16_e32 v47, v47
	v_fma_f32 v40, v18, v52, -v19
	v_mov_b32_e32 v52, 0
	v_cvt_f32_i32_e32 v54, v58
	v_dot4c_i32_i8_e32 v52, v50, v90
	v_fmac_f32_e32 v55, v40, v41
	v_cvt_f32_f16_e32 v56, v56
	v_fma_f32 v40, v18, v54, -v19
	v_cvt_f32_i32_e32 v50, v52
	v_mov_b32_e32 v52, 0
	v_dot4c_i32_i8_e32 v52, v51, v91
	v_fmac_f32_e32 v55, v40, v41
	v_mov_b32_e32 v41, 0
	v_dot4c_i32_i8_e32 v41, v48, v92
	v_cvt_f32_i32_e32 v51, v52
	v_fma_f32 v40, v20, v50, -v21
	v_fmac_f32_e32 v55, v40, v42
	v_cvt_f32_i32_e32 v41, v41
	v_fma_f32 v40, v20, v51, -v21
	v_mov_b32_e32 v48, 0
	v_dot4c_i32_i8_e32 v48, v49, v93
	v_fmac_f32_e32 v55, v40, v42
	v_fma_f32 v40, v22, v41, -v23
	v_mov_b32_e32 v41, 0
	v_cvt_f32_i32_e32 v48, v48
	v_dot4c_i32_i8_e32 v41, v43, v94
	v_fmac_f32_e32 v55, v40, v44
	v_mov_b32_e32 v42, 0
	v_fma_f32 v40, v22, v48, -v23
	v_cvt_f32_i32_e32 v41, v41
	v_fmac_f32_e32 v55, v40, v44
	v_dot4c_i32_i8_e32 v42, v45, v95
	v_cvt_f32_f16_e32 v53, v53
	v_fma_f32 v40, v24, v41, -v25
	v_mov_b32_e32 v41, 0
	v_dot4c_i32_i8_e32 v41, v38, v96
	v_cvt_f32_i32_e32 v42, v42
	v_fmac_f32_e32 v55, v40, v46
	s_andn2_b64 vcc, exec, s[36:37]
	v_cvt_f32_i32_e32 v38, v41
	v_mov_b32_e32 v41, 0
	v_dot4c_i32_i8_e32 v41, v39, v97
	v_fma_f32 v40, v24, v42, -v25
	v_fmac_f32_e32 v55, v40, v46
	v_fma_f32 v38, v26, v38, -v27
	v_cvt_f32_i32_e32 v39, v41
	v_fmac_f32_e32 v55, v38, v47
	v_fma_f32 v38, v26, v39, -v27
	v_mov_b32_e32 v39, 0
	v_dot4c_i32_i8_e32 v39, v35, v98
	v_fmac_f32_e32 v55, v38, v47
	s_nop 1
	v_cvt_f32_i32_e32 v35, v39
	v_mov_b32_e32 v39, 0
	v_dot4c_i32_i8_e32 v39, v37, v99
	v_fma_f32 v35, v28, v35, -v29
	v_fmac_f32_e32 v55, v35, v56
	s_nop 0
	v_cvt_f32_i32_e32 v37, v39
	v_fma_f32 v35, v28, v37, -v29
	v_mov_b32_e32 v37, 0
	v_dot4c_i32_i8_e32 v37, v32, v100
	v_fmac_f32_e32 v55, v35, v56
	v_cndmask_b32_e64 v35, 0, 1, s[36:37]
	v_cmp_ne_u32_e64 s[12:13], 1, v35
	v_cvt_f32_i32_e32 v32, v37
	v_mov_b32_e32 v37, 0
	v_dot4c_i32_i8_e32 v37, v33, v101
	v_fma_f32 v32, v30, v32, -v31
	v_fmac_f32_e32 v55, v32, v53
	s_nop 0
	v_cvt_f32_i32_e32 v33, v37
	v_fma_f32 v32, v30, v33, -v31
	v_fmac_f32_e32 v55, v32, v53
	ds_bpermute_b32 v32, v151, v55
	s_waitcnt lgkmcnt(0)
	v_add_f32_e32 v32, v55, v32
	ds_bpermute_b32 v33, v152, v32
	s_waitcnt lgkmcnt(0)
	v_add_f32_e32 v35, v32, v33
	s_cbranch_vccnz .LBB28_26
; %bb.25:                               ;   in Loop: Header=BB28_22 Depth=1
	v_lshl_add_u64 v[32:33], v[110:111], 1, s[26:27]
	global_load_ushort v32, v[32:33], off
	s_waitcnt vmcnt(0)
	v_fma_mix_f32 v35, v149, v32, v35 op_sel_hi:[0,1,0]
.LBB28_26:                              ;   in Loop: Header=BB28_22 Depth=1
	v_lshl_add_u64 v[32:33], s[30:31], 0, v[112:113]
	v_lshl_add_u64 v[38:39], v[32:33], 0, v[104:105]
	global_load_dword v37, v[38:39], off offset:2
	global_load_dword v40, v[38:39], off offset:20
	;; [unrolled: 1-line block ×7, first 2 shown]
	s_nop 0
	global_load_dword v39, v[38:39], off offset:128
	s_nop 0
	global_load_ushort v42, v[32:33], off
	global_load_ushort v43, v[32:33], off offset:18
	global_load_ushort v44, v[32:33], off offset:36
	;; [unrolled: 1-line block ×7, first 2 shown]
	v_mov_b32_e32 v60, 0
	v_mov_b32_e32 v61, 0
	;; [unrolled: 1-line block ×12, first 2 shown]
	s_andn2_b64 vcc, exec, s[34:35]
	s_waitcnt vmcnt(15)
	v_and_b32_e32 v57, 0xf0f0f0f, v37
	v_lshrrev_b32_e32 v33, 4, v37
	s_waitcnt vmcnt(14)
	v_lshrrev_b32_e32 v37, 4, v40
	v_and_b32_e32 v59, 0xf0f0f0f, v33
	v_dot4c_i32_i8_e32 v60, v57, v70
	v_and_b32_e32 v54, 0xf0f0f0f, v40
	v_and_b32_e32 v56, 0xf0f0f0f, v37
	v_dot4c_i32_i8_e32 v61, v59, v71
	v_cvt_f32_i32_e32 v37, v60
	v_dot4c_i32_i8_e32 v62, v54, v72
	s_waitcnt vmcnt(13)
	v_and_b32_e32 v52, 0xf0f0f0f, v41
	v_cvt_f32_i32_e32 v61, v61
	v_lshrrev_b32_e32 v41, 4, v41
	v_cvt_f32_i32_e32 v60, v62
	v_dot4c_i32_i8_e32 v63, v56, v73
	s_waitcnt vmcnt(9)
	v_and_b32_e32 v38, 0xf0f0f0f, v53
	v_lshrrev_b32_e32 v160, 4, v53
	v_and_b32_e32 v53, 0xf0f0f0f, v41
	v_dot4c_i32_i8_e32 v64, v52, v74
	v_cvt_f32_i32_e32 v63, v63
	v_and_b32_e32 v50, 0xf0f0f0f, v45
	v_lshrrev_b32_e32 v158, 4, v45
	v_cvt_f32_i32_e32 v62, v64
	v_dot4c_i32_i8_e32 v65, v53, v75
	v_fma_f32 v37, v0, v37, -v1
	v_and_b32_e32 v40, 0xf0f0f0f, v51
	v_lshrrev_b32_e32 v159, 4, v51
	v_and_b32_e32 v51, 0xf0f0f0f, v158
	v_dot4c_i32_i8_e32 v66, v50, v76
	v_cvt_f32_i32_e32 v65, v65
	s_waitcnt vmcnt(7)
	v_fma_mix_f32 v37, v37, v42, 0 op_sel_hi:[0,1,0]
	v_fma_f32 v61, v0, v61, -v1
	v_and_b32_e32 v45, 0xf0f0f0f, v47
	v_lshrrev_b32_e32 v47, 4, v47
	v_cvt_f32_i32_e32 v64, v66
	v_dot4c_i32_i8_e32 v67, v51, v77
	v_fma_f32 v60, v2, v60, -v3
	v_fma_mix_f32 v37, v61, v42, v37 op_sel_hi:[0,1,0]
	v_and_b32_e32 v47, 0xf0f0f0f, v47
	v_dot4c_i32_i8_e32 v138, v45, v78
	v_cvt_f32_i32_e32 v67, v67
	v_fma_f32 v63, v2, v63, -v3
	s_waitcnt vmcnt(6)
	v_fma_mix_f32 v37, v60, v43, v37 op_sel_hi:[0,1,0]
	v_cvt_f32_i32_e32 v66, v138
	v_dot4c_i32_i8_e32 v139, v47, v79
	v_fma_f32 v62, v4, v62, -v5
	v_fma_mix_f32 v37, v63, v43, v37 op_sel_hi:[0,1,0]
	v_and_b32_e32 v41, 0xf0f0f0f, v159
	v_dot4c_i32_i8_e32 v142, v40, v80
	v_cvt_f32_i32_e32 v139, v139
	v_fma_f32 v65, v4, v65, -v5
	s_waitcnt vmcnt(5)
	v_fma_mix_f32 v37, v62, v44, v37 op_sel_hi:[0,1,0]
	v_cvt_f32_i32_e32 v138, v142
	v_dot4c_i32_i8_e32 v143, v41, v81
	v_fma_f32 v64, v6, v64, -v7
	v_fma_mix_f32 v37, v65, v44, v37 op_sel_hi:[0,1,0]
	v_mov_b32_e32 v61, 0
	v_and_b32_e32 v32, 0xf0f0f0f, v39
	v_lshrrev_b32_e32 v161, 4, v39
	v_and_b32_e32 v39, 0xf0f0f0f, v160
	v_cvt_f32_i32_e32 v142, v143
	v_fma_f32 v67, v6, v67, -v7
	s_waitcnt vmcnt(4)
	v_fma_mix_f32 v37, v64, v46, v37 op_sel_hi:[0,1,0]
	v_dot4c_i32_i8_e32 v61, v38, v82
	v_mov_b32_e32 v62, 0
	v_fma_f32 v66, v8, v66, -v9
	v_fma_mix_f32 v37, v67, v46, v37 op_sel_hi:[0,1,0]
	v_cvt_f32_i32_e32 v61, v61
	v_dot4c_i32_i8_e32 v62, v39, v83
	v_fma_f32 v139, v8, v139, -v9
	s_waitcnt vmcnt(3)
	v_fma_mix_f32 v37, v66, v48, v37 op_sel_hi:[0,1,0]
	v_fma_f32 v138, v10, v138, -v11
	v_cvt_f32_i32_e32 v62, v62
	v_fma_mix_f32 v37, v139, v48, v37 op_sel_hi:[0,1,0]
	s_waitcnt vmcnt(2)
	v_fma_mix_f32 v37, v138, v49, v37 op_sel_hi:[0,1,0]
	v_fma_f32 v60, v10, v142, -v11
	v_fma_mix_f32 v37, v60, v49, v37 op_sel_hi:[0,1,0]
	v_fma_f32 v60, v12, v61, -v13
	v_mov_b32_e32 v61, 0
	v_and_b32_e32 v33, 0xf0f0f0f, v161
	s_waitcnt vmcnt(1)
	v_fma_mix_f32 v37, v60, v58, v37 op_sel_hi:[0,1,0]
	v_fma_f32 v60, v12, v62, -v13
	v_dot4c_i32_i8_e32 v61, v32, v84
	v_mov_b32_e32 v62, 0
	v_dot4c_i32_i8_e32 v62, v33, v85
	v_fma_mix_f32 v37, v60, v58, v37 op_sel_hi:[0,1,0]
	v_cvt_f32_i32_e32 v61, v61
	v_fma_f32 v60, v14, v61, -v15
	v_cvt_f32_i32_e32 v62, v62
	s_waitcnt vmcnt(0)
	v_fma_mix_f32 v37, v60, v55, v37 op_sel_hi:[0,1,0]
	v_cndmask_b32_e64 v61, 0, 1, s[34:35]
	v_cmp_ne_u32_e64 s[14:15], 1, v61
	v_fma_f32 v60, v14, v62, -v15
	v_fma_mix_f32 v37, v60, v55, v37 op_sel_hi:[0,1,0]
	ds_bpermute_b32 v60, v151, v37
	s_waitcnt lgkmcnt(0)
	v_add_f32_e32 v37, v37, v60
	ds_bpermute_b32 v60, v152, v37
	s_waitcnt lgkmcnt(0)
	v_add_f32_e32 v37, v37, v60
	s_cbranch_vccnz .LBB28_28
; %bb.27:                               ;   in Loop: Header=BB28_22 Depth=1
	global_load_ushort v60, v36, s[26:27] offset:2
	s_waitcnt vmcnt(0)
	v_fma_mix_f32 v37, v149, v60, v37 op_sel_hi:[0,1,0]
.LBB28_28:                              ;   in Loop: Header=BB28_22 Depth=1
	v_mov_b32_e32 v60, 0
	v_dot4c_i32_i8_e32 v60, v57, v86
	v_cvt_f32_f16_e32 v42, v42
	v_cvt_f32_f16_e32 v43, v43
	;; [unrolled: 1-line block ×3, first 2 shown]
	v_cvt_f32_i32_e32 v57, v60
	v_mov_b32_e32 v60, 0
	v_dot4c_i32_i8_e32 v60, v59, v87
	v_cvt_f32_f16_e32 v46, v46
	v_fma_f32 v57, v16, v57, -v17
	v_fma_f32 v57, v57, v42, 0
	v_cvt_f32_i32_e32 v59, v60
	v_mov_b32_e32 v60, 0
	v_dot4c_i32_i8_e32 v60, v54, v88
	v_cvt_f32_f16_e32 v48, v48
	v_fma_f32 v59, v16, v59, -v17
	v_fmac_f32_e32 v57, v59, v42
	v_cvt_f32_i32_e32 v54, v60
	v_mov_b32_e32 v60, 0
	v_dot4c_i32_i8_e32 v60, v56, v89
	v_cvt_f32_f16_e32 v49, v49
	v_fma_f32 v42, v18, v54, -v19
	v_mov_b32_e32 v54, 0
	v_cvt_f32_i32_e32 v56, v60
	v_dot4c_i32_i8_e32 v54, v52, v90
	v_fmac_f32_e32 v57, v42, v43
	v_cvt_f32_f16_e32 v58, v58
	v_fma_f32 v42, v18, v56, -v19
	v_cvt_f32_i32_e32 v52, v54
	v_mov_b32_e32 v54, 0
	v_dot4c_i32_i8_e32 v54, v53, v91
	v_fmac_f32_e32 v57, v42, v43
	v_mov_b32_e32 v43, 0
	v_dot4c_i32_i8_e32 v43, v50, v92
	v_cvt_f32_i32_e32 v53, v54
	v_fma_f32 v42, v20, v52, -v21
	v_fmac_f32_e32 v57, v42, v44
	v_cvt_f32_i32_e32 v43, v43
	v_fma_f32 v42, v20, v53, -v21
	v_mov_b32_e32 v50, 0
	v_dot4c_i32_i8_e32 v50, v51, v93
	v_fmac_f32_e32 v57, v42, v44
	v_fma_f32 v42, v22, v43, -v23
	v_mov_b32_e32 v43, 0
	v_cvt_f32_i32_e32 v50, v50
	v_dot4c_i32_i8_e32 v43, v45, v94
	v_fmac_f32_e32 v57, v42, v46
	v_mov_b32_e32 v44, 0
	v_fma_f32 v42, v22, v50, -v23
	v_cvt_f32_i32_e32 v43, v43
	v_fmac_f32_e32 v57, v42, v46
	v_dot4c_i32_i8_e32 v44, v47, v95
	v_cvt_f32_f16_e32 v55, v55
	v_fma_f32 v42, v24, v43, -v25
	v_mov_b32_e32 v43, 0
	v_dot4c_i32_i8_e32 v43, v40, v96
	v_cvt_f32_i32_e32 v44, v44
	v_fmac_f32_e32 v57, v42, v48
	s_and_b64 vcc, exec, s[12:13]
	v_cvt_f32_i32_e32 v40, v43
	v_mov_b32_e32 v43, 0
	v_dot4c_i32_i8_e32 v43, v41, v97
	v_fma_f32 v42, v24, v44, -v25
	v_fmac_f32_e32 v57, v42, v48
	v_fma_f32 v40, v26, v40, -v27
	v_cvt_f32_i32_e32 v41, v43
	v_fmac_f32_e32 v57, v40, v49
	v_fma_f32 v40, v26, v41, -v27
	v_mov_b32_e32 v41, 0
	v_dot4c_i32_i8_e32 v41, v38, v98
	v_fmac_f32_e32 v57, v40, v49
	s_nop 1
	v_cvt_f32_i32_e32 v38, v41
	v_mov_b32_e32 v41, 0
	v_dot4c_i32_i8_e32 v41, v39, v99
	v_fma_f32 v38, v28, v38, -v29
	v_fmac_f32_e32 v57, v38, v58
	s_nop 0
	v_cvt_f32_i32_e32 v39, v41
	v_fma_f32 v38, v28, v39, -v29
	v_mov_b32_e32 v39, 0
	v_dot4c_i32_i8_e32 v39, v32, v100
	v_fmac_f32_e32 v57, v38, v58
	s_nop 1
	v_cvt_f32_i32_e32 v32, v39
	v_mov_b32_e32 v39, 0
	v_dot4c_i32_i8_e32 v39, v33, v101
	v_fma_f32 v32, v30, v32, -v31
	v_fmac_f32_e32 v57, v32, v55
	s_nop 0
	v_cvt_f32_i32_e32 v33, v39
	v_fma_f32 v32, v30, v33, -v31
	v_fmac_f32_e32 v57, v32, v55
	ds_bpermute_b32 v32, v151, v57
	s_waitcnt lgkmcnt(0)
	v_add_f32_e32 v32, v57, v32
	ds_bpermute_b32 v33, v152, v32
	s_waitcnt lgkmcnt(0)
	v_add_f32_e32 v38, v32, v33
	v_lshl_add_u64 v[32:33], v[134:135], 1, s[26:27]
	s_cbranch_vccnz .LBB28_30
; %bb.29:                               ;   in Loop: Header=BB28_22 Depth=1
	global_load_ushort v39, v[32:33], off offset:2
	s_waitcnt vmcnt(0)
	v_fma_mix_f32 v38, v149, v39, v38 op_sel_hi:[0,1,0]
.LBB28_30:                              ;   in Loop: Header=BB28_22 Depth=1
	v_lshl_add_u64 v[40:41], s[30:31], 0, v[114:115]
	v_lshl_add_u64 v[42:43], v[40:41], 0, v[104:105]
	global_load_dword v39, v[42:43], off offset:2
	global_load_dword v44, v[42:43], off offset:20
	;; [unrolled: 1-line block ×7, first 2 shown]
	s_nop 0
	global_load_dword v43, v[42:43], off offset:128
	s_nop 0
	global_load_ushort v46, v[40:41], off
	global_load_ushort v47, v[40:41], off offset:18
	global_load_ushort v48, v[40:41], off offset:36
	;; [unrolled: 1-line block ×7, first 2 shown]
	v_mov_b32_e32 v64, 0
	v_mov_b32_e32 v65, 0
	;; [unrolled: 1-line block ×12, first 2 shown]
	s_and_b64 vcc, exec, s[14:15]
	s_waitcnt vmcnt(15)
	v_and_b32_e32 v61, 0xf0f0f0f, v39
	v_lshrrev_b32_e32 v39, 4, v39
	v_and_b32_e32 v63, 0xf0f0f0f, v39
	v_dot4c_i32_i8_e32 v64, v61, v70
	s_waitcnt vmcnt(14)
	v_and_b32_e32 v58, 0xf0f0f0f, v44
	v_lshrrev_b32_e32 v41, 4, v44
	v_dot4c_i32_i8_e32 v65, v63, v71
	v_cvt_f32_i32_e32 v39, v64
	v_and_b32_e32 v60, 0xf0f0f0f, v41
	v_dot4c_i32_i8_e32 v66, v58, v72
	v_cvt_f32_i32_e32 v65, v65
	s_waitcnt vmcnt(13)
	v_and_b32_e32 v56, 0xf0f0f0f, v45
	v_lshrrev_b32_e32 v45, 4, v45
	v_cvt_f32_i32_e32 v64, v66
	v_dot4c_i32_i8_e32 v67, v60, v73
	s_waitcnt vmcnt(9)
	v_and_b32_e32 v42, 0xf0f0f0f, v57
	v_lshrrev_b32_e32 v164, 4, v57
	v_and_b32_e32 v57, 0xf0f0f0f, v45
	v_dot4c_i32_i8_e32 v138, v56, v74
	v_cvt_f32_i32_e32 v67, v67
	v_and_b32_e32 v54, 0xf0f0f0f, v49
	v_lshrrev_b32_e32 v162, 4, v49
	v_cvt_f32_i32_e32 v66, v138
	v_dot4c_i32_i8_e32 v139, v57, v75
	v_fma_f32 v39, v0, v39, -v1
	v_and_b32_e32 v44, 0xf0f0f0f, v55
	v_lshrrev_b32_e32 v163, 4, v55
	v_and_b32_e32 v55, 0xf0f0f0f, v162
	v_dot4c_i32_i8_e32 v142, v54, v76
	v_cvt_f32_i32_e32 v139, v139
	s_waitcnt vmcnt(7)
	v_fma_mix_f32 v39, v39, v46, 0 op_sel_hi:[0,1,0]
	v_fma_f32 v65, v0, v65, -v1
	v_and_b32_e32 v49, 0xf0f0f0f, v51
	v_lshrrev_b32_e32 v51, 4, v51
	v_cvt_f32_i32_e32 v138, v142
	v_dot4c_i32_i8_e32 v143, v55, v77
	v_fma_f32 v64, v2, v64, -v3
	v_fma_mix_f32 v39, v65, v46, v39 op_sel_hi:[0,1,0]
	v_and_b32_e32 v51, 0xf0f0f0f, v51
	v_dot4c_i32_i8_e32 v158, v49, v78
	v_cvt_f32_i32_e32 v143, v143
	v_fma_f32 v67, v2, v67, -v3
	s_waitcnt vmcnt(6)
	v_fma_mix_f32 v39, v64, v47, v39 op_sel_hi:[0,1,0]
	v_cvt_f32_i32_e32 v142, v158
	v_dot4c_i32_i8_e32 v159, v51, v79
	v_fma_f32 v66, v4, v66, -v5
	v_fma_mix_f32 v39, v67, v47, v39 op_sel_hi:[0,1,0]
	v_and_b32_e32 v45, 0xf0f0f0f, v163
	v_dot4c_i32_i8_e32 v160, v44, v80
	v_cvt_f32_i32_e32 v159, v159
	v_fma_f32 v139, v4, v139, -v5
	s_waitcnt vmcnt(5)
	v_fma_mix_f32 v39, v66, v48, v39 op_sel_hi:[0,1,0]
	v_cvt_f32_i32_e32 v158, v160
	v_dot4c_i32_i8_e32 v161, v45, v81
	v_fma_f32 v138, v6, v138, -v7
	v_fma_mix_f32 v39, v139, v48, v39 op_sel_hi:[0,1,0]
	v_mov_b32_e32 v65, 0
	v_and_b32_e32 v40, 0xf0f0f0f, v43
	v_lshrrev_b32_e32 v165, 4, v43
	v_and_b32_e32 v43, 0xf0f0f0f, v164
	v_cvt_f32_i32_e32 v160, v161
	v_fma_f32 v143, v6, v143, -v7
	s_waitcnt vmcnt(4)
	v_fma_mix_f32 v39, v138, v50, v39 op_sel_hi:[0,1,0]
	v_dot4c_i32_i8_e32 v65, v42, v82
	v_mov_b32_e32 v66, 0
	v_fma_f32 v142, v8, v142, -v9
	v_fma_mix_f32 v39, v143, v50, v39 op_sel_hi:[0,1,0]
	v_cvt_f32_i32_e32 v65, v65
	v_dot4c_i32_i8_e32 v66, v43, v83
	v_fma_f32 v159, v8, v159, -v9
	s_waitcnt vmcnt(3)
	v_fma_mix_f32 v39, v142, v52, v39 op_sel_hi:[0,1,0]
	v_fma_f32 v158, v10, v158, -v11
	v_cvt_f32_i32_e32 v66, v66
	v_fma_mix_f32 v39, v159, v52, v39 op_sel_hi:[0,1,0]
	s_waitcnt vmcnt(2)
	v_fma_mix_f32 v39, v158, v53, v39 op_sel_hi:[0,1,0]
	v_fma_f32 v64, v10, v160, -v11
	v_fma_mix_f32 v39, v64, v53, v39 op_sel_hi:[0,1,0]
	v_fma_f32 v64, v12, v65, -v13
	v_mov_b32_e32 v65, 0
	v_and_b32_e32 v41, 0xf0f0f0f, v165
	s_waitcnt vmcnt(1)
	v_fma_mix_f32 v39, v64, v62, v39 op_sel_hi:[0,1,0]
	v_fma_f32 v64, v12, v66, -v13
	v_dot4c_i32_i8_e32 v65, v40, v84
	v_mov_b32_e32 v66, 0
	v_dot4c_i32_i8_e32 v66, v41, v85
	v_fma_mix_f32 v39, v64, v62, v39 op_sel_hi:[0,1,0]
	v_cvt_f32_i32_e32 v65, v65
	v_fma_f32 v64, v14, v65, -v15
	v_cvt_f32_i32_e32 v66, v66
	s_waitcnt vmcnt(0)
	v_fma_mix_f32 v39, v64, v59, v39 op_sel_hi:[0,1,0]
	v_fma_f32 v64, v14, v66, -v15
	v_fma_mix_f32 v39, v64, v59, v39 op_sel_hi:[0,1,0]
	ds_bpermute_b32 v64, v151, v39
	s_waitcnt lgkmcnt(0)
	v_add_f32_e32 v39, v39, v64
	ds_bpermute_b32 v64, v152, v39
	s_waitcnt lgkmcnt(0)
	v_add_f32_e32 v39, v39, v64
	s_cbranch_vccnz .LBB28_32
; %bb.31:                               ;   in Loop: Header=BB28_22 Depth=1
	global_load_ushort v64, v36, s[26:27] offset:4
	s_waitcnt vmcnt(0)
	v_fma_mix_f32 v39, v149, v64, v39 op_sel_hi:[0,1,0]
.LBB28_32:                              ;   in Loop: Header=BB28_22 Depth=1
	v_mov_b32_e32 v64, 0
	v_dot4c_i32_i8_e32 v64, v61, v86
	v_cvt_f32_f16_e32 v46, v46
	v_cvt_f32_f16_e32 v47, v47
	;; [unrolled: 1-line block ×3, first 2 shown]
	v_cvt_f32_i32_e32 v61, v64
	v_mov_b32_e32 v64, 0
	v_dot4c_i32_i8_e32 v64, v63, v87
	v_cvt_f32_f16_e32 v50, v50
	v_fma_f32 v61, v16, v61, -v17
	v_fma_f32 v61, v61, v46, 0
	v_cvt_f32_i32_e32 v63, v64
	v_mov_b32_e32 v64, 0
	v_dot4c_i32_i8_e32 v64, v58, v88
	v_cvt_f32_f16_e32 v52, v52
	v_fma_f32 v63, v16, v63, -v17
	v_fmac_f32_e32 v61, v63, v46
	v_cvt_f32_i32_e32 v58, v64
	v_mov_b32_e32 v64, 0
	v_dot4c_i32_i8_e32 v64, v60, v89
	v_cvt_f32_f16_e32 v53, v53
	v_fma_f32 v46, v18, v58, -v19
	v_mov_b32_e32 v58, 0
	v_cvt_f32_i32_e32 v60, v64
	v_dot4c_i32_i8_e32 v58, v56, v90
	v_fmac_f32_e32 v61, v46, v47
	v_cvt_f32_f16_e32 v62, v62
	v_fma_f32 v46, v18, v60, -v19
	v_cvt_f32_i32_e32 v56, v58
	v_mov_b32_e32 v58, 0
	v_dot4c_i32_i8_e32 v58, v57, v91
	v_fmac_f32_e32 v61, v46, v47
	v_mov_b32_e32 v47, 0
	v_dot4c_i32_i8_e32 v47, v54, v92
	v_cvt_f32_i32_e32 v57, v58
	v_fma_f32 v46, v20, v56, -v21
	v_fmac_f32_e32 v61, v46, v48
	v_cvt_f32_i32_e32 v47, v47
	v_fma_f32 v46, v20, v57, -v21
	v_mov_b32_e32 v54, 0
	v_dot4c_i32_i8_e32 v54, v55, v93
	v_fmac_f32_e32 v61, v46, v48
	v_fma_f32 v46, v22, v47, -v23
	v_mov_b32_e32 v47, 0
	v_cvt_f32_i32_e32 v54, v54
	v_dot4c_i32_i8_e32 v47, v49, v94
	v_fmac_f32_e32 v61, v46, v50
	v_mov_b32_e32 v48, 0
	v_fma_f32 v46, v22, v54, -v23
	v_cvt_f32_i32_e32 v47, v47
	v_fmac_f32_e32 v61, v46, v50
	v_dot4c_i32_i8_e32 v48, v51, v95
	v_cvt_f32_f16_e32 v59, v59
	v_fma_f32 v46, v24, v47, -v25
	v_mov_b32_e32 v47, 0
	v_dot4c_i32_i8_e32 v47, v44, v96
	v_cvt_f32_i32_e32 v48, v48
	v_fmac_f32_e32 v61, v46, v52
	s_and_b64 vcc, exec, s[12:13]
	v_cvt_f32_i32_e32 v44, v47
	v_mov_b32_e32 v47, 0
	v_dot4c_i32_i8_e32 v47, v45, v97
	v_fma_f32 v46, v24, v48, -v25
	v_fmac_f32_e32 v61, v46, v52
	v_fma_f32 v44, v26, v44, -v27
	v_cvt_f32_i32_e32 v45, v47
	v_fmac_f32_e32 v61, v44, v53
	v_fma_f32 v44, v26, v45, -v27
	v_mov_b32_e32 v45, 0
	v_dot4c_i32_i8_e32 v45, v42, v98
	v_fmac_f32_e32 v61, v44, v53
	s_nop 1
	v_cvt_f32_i32_e32 v42, v45
	v_mov_b32_e32 v45, 0
	v_dot4c_i32_i8_e32 v45, v43, v99
	v_fma_f32 v42, v28, v42, -v29
	v_fmac_f32_e32 v61, v42, v62
	s_nop 0
	v_cvt_f32_i32_e32 v43, v45
	v_fma_f32 v42, v28, v43, -v29
	v_mov_b32_e32 v43, 0
	v_dot4c_i32_i8_e32 v43, v40, v100
	v_fmac_f32_e32 v61, v42, v62
	s_nop 1
	v_cvt_f32_i32_e32 v40, v43
	v_mov_b32_e32 v43, 0
	v_dot4c_i32_i8_e32 v43, v41, v101
	v_fma_f32 v40, v30, v40, -v31
	v_fmac_f32_e32 v61, v40, v59
	s_nop 0
	v_cvt_f32_i32_e32 v41, v43
	v_fma_f32 v40, v30, v41, -v31
	v_fmac_f32_e32 v61, v40, v59
	ds_bpermute_b32 v40, v151, v61
	s_waitcnt lgkmcnt(0)
	v_add_f32_e32 v40, v61, v40
	ds_bpermute_b32 v41, v152, v40
	s_waitcnt lgkmcnt(0)
	v_add_f32_e32 v40, v40, v41
	s_cbranch_vccnz .LBB28_34
; %bb.33:                               ;   in Loop: Header=BB28_22 Depth=1
	global_load_ushort v41, v[32:33], off offset:4
	s_waitcnt vmcnt(0)
	v_fma_mix_f32 v40, v149, v41, v40 op_sel_hi:[0,1,0]
.LBB28_34:                              ;   in Loop: Header=BB28_22 Depth=1
	v_lshl_add_u64 v[42:43], s[30:31], 0, v[116:117]
	v_lshl_add_u64 v[44:45], v[42:43], 0, v[104:105]
	global_load_dword v41, v[44:45], off offset:2
	global_load_dword v46, v[44:45], off offset:20
	;; [unrolled: 1-line block ×7, first 2 shown]
	s_nop 0
	global_load_dword v44, v[44:45], off offset:128
	s_nop 0
	global_load_ushort v47, v[42:43], off
	global_load_ushort v48, v[42:43], off offset:18
	global_load_ushort v49, v[42:43], off offset:36
	;; [unrolled: 1-line block ×7, first 2 shown]
	v_mov_b32_e32 v66, 0
	v_mov_b32_e32 v67, 0
	;; [unrolled: 1-line block ×12, first 2 shown]
	s_and_b64 vcc, exec, s[14:15]
	s_waitcnt vmcnt(15)
	v_and_b32_e32 v63, 0xf0f0f0f, v41
	v_lshrrev_b32_e32 v42, 4, v41
	v_and_b32_e32 v65, 0xf0f0f0f, v42
	s_waitcnt vmcnt(12)
	v_and_b32_e32 v56, 0xf0f0f0f, v51
	v_lshrrev_b32_e32 v51, 4, v51
	v_dot4c_i32_i8_e32 v66, v63, v70
	v_and_b32_e32 v60, 0xf0f0f0f, v46
	v_lshrrev_b32_e32 v46, 4, v46
	s_waitcnt vmcnt(10)
	v_and_b32_e32 v45, 0xf0f0f0f, v57
	v_lshrrev_b32_e32 v165, 4, v57
	v_and_b32_e32 v57, 0xf0f0f0f, v51
	v_cvt_f32_i32_e32 v51, v66
	v_dot4c_i32_i8_e32 v67, v65, v71
	v_and_b32_e32 v62, 0xf0f0f0f, v46
	v_dot4c_i32_i8_e32 v138, v60, v72
	v_and_b32_e32 v58, 0xf0f0f0f, v50
	v_cvt_f32_i32_e32 v67, v67
	v_lshrrev_b32_e32 v164, 4, v50
	v_cvt_f32_i32_e32 v66, v138
	v_dot4c_i32_i8_e32 v139, v62, v73
	s_waitcnt vmcnt(9)
	v_and_b32_e32 v43, 0xf0f0f0f, v59
	v_lshrrev_b32_e32 v166, 4, v59
	v_and_b32_e32 v59, 0xf0f0f0f, v164
	v_dot4c_i32_i8_e32 v142, v58, v74
	v_cvt_f32_i32_e32 v139, v139
	v_dot4c_i32_i8_e32 v143, v59, v75
	v_fma_f32 v51, v0, v51, -v1
	v_cvt_f32_i32_e32 v138, v142
	v_dot4c_i32_i8_e32 v158, v56, v76
	v_cvt_f32_i32_e32 v143, v143
	s_waitcnt vmcnt(7)
	v_fma_mix_f32 v51, v51, v47, 0 op_sel_hi:[0,1,0]
	v_fma_f32 v67, v0, v67, -v1
	v_and_b32_e32 v50, 0xf0f0f0f, v53
	v_lshrrev_b32_e32 v53, 4, v53
	v_cvt_f32_i32_e32 v142, v158
	v_dot4c_i32_i8_e32 v159, v57, v77
	v_fma_f32 v66, v2, v66, -v3
	v_fma_mix_f32 v51, v67, v47, v51 op_sel_hi:[0,1,0]
	v_and_b32_e32 v53, 0xf0f0f0f, v53
	v_dot4c_i32_i8_e32 v160, v50, v78
	v_cvt_f32_i32_e32 v159, v159
	v_fma_f32 v139, v2, v139, -v3
	s_waitcnt vmcnt(6)
	v_fma_mix_f32 v51, v66, v48, v51 op_sel_hi:[0,1,0]
	v_cvt_f32_i32_e32 v158, v160
	v_dot4c_i32_i8_e32 v161, v53, v79
	v_fma_f32 v138, v4, v138, -v5
	v_fma_mix_f32 v51, v139, v48, v51 op_sel_hi:[0,1,0]
	v_and_b32_e32 v46, 0xf0f0f0f, v165
	v_dot4c_i32_i8_e32 v162, v45, v80
	v_cvt_f32_i32_e32 v161, v161
	v_fma_f32 v143, v4, v143, -v5
	s_waitcnt vmcnt(5)
	v_fma_mix_f32 v51, v138, v49, v51 op_sel_hi:[0,1,0]
	v_cvt_f32_i32_e32 v160, v162
	v_dot4c_i32_i8_e32 v163, v46, v81
	v_fma_f32 v142, v6, v142, -v7
	v_fma_mix_f32 v51, v143, v49, v51 op_sel_hi:[0,1,0]
	v_mov_b32_e32 v67, 0
	v_and_b32_e32 v41, 0xf0f0f0f, v44
	v_lshrrev_b32_e32 v167, 4, v44
	v_and_b32_e32 v44, 0xf0f0f0f, v166
	v_cvt_f32_i32_e32 v162, v163
	v_fma_f32 v159, v6, v159, -v7
	s_waitcnt vmcnt(4)
	v_fma_mix_f32 v51, v142, v52, v51 op_sel_hi:[0,1,0]
	v_dot4c_i32_i8_e32 v67, v43, v82
	v_mov_b32_e32 v138, 0
	v_fma_f32 v158, v8, v158, -v9
	v_fma_mix_f32 v51, v159, v52, v51 op_sel_hi:[0,1,0]
	v_cvt_f32_i32_e32 v67, v67
	v_dot4c_i32_i8_e32 v138, v44, v83
	v_fma_f32 v161, v8, v161, -v9
	s_waitcnt vmcnt(3)
	v_fma_mix_f32 v51, v158, v54, v51 op_sel_hi:[0,1,0]
	v_fma_f32 v160, v10, v160, -v11
	v_cvt_f32_i32_e32 v138, v138
	v_fma_mix_f32 v51, v161, v54, v51 op_sel_hi:[0,1,0]
	s_waitcnt vmcnt(2)
	v_fma_mix_f32 v51, v160, v55, v51 op_sel_hi:[0,1,0]
	v_fma_f32 v66, v10, v162, -v11
	v_fma_mix_f32 v51, v66, v55, v51 op_sel_hi:[0,1,0]
	v_fma_f32 v66, v12, v67, -v13
	v_mov_b32_e32 v67, 0
	v_and_b32_e32 v42, 0xf0f0f0f, v167
	s_waitcnt vmcnt(1)
	v_fma_mix_f32 v51, v66, v64, v51 op_sel_hi:[0,1,0]
	v_fma_f32 v66, v12, v138, -v13
	v_dot4c_i32_i8_e32 v67, v41, v84
	v_mov_b32_e32 v138, 0
	v_dot4c_i32_i8_e32 v138, v42, v85
	v_fma_mix_f32 v51, v66, v64, v51 op_sel_hi:[0,1,0]
	v_cvt_f32_i32_e32 v67, v67
	v_fma_f32 v66, v14, v67, -v15
	v_cvt_f32_i32_e32 v138, v138
	s_waitcnt vmcnt(0)
	v_fma_mix_f32 v51, v66, v61, v51 op_sel_hi:[0,1,0]
	v_fma_f32 v66, v14, v138, -v15
	v_fma_mix_f32 v51, v66, v61, v51 op_sel_hi:[0,1,0]
	ds_bpermute_b32 v66, v151, v51
	s_waitcnt lgkmcnt(0)
	v_add_f32_e32 v51, v51, v66
	ds_bpermute_b32 v66, v152, v51
	s_waitcnt lgkmcnt(0)
	v_add_f32_e32 v51, v51, v66
	s_cbranch_vccnz .LBB28_36
; %bb.35:                               ;   in Loop: Header=BB28_22 Depth=1
	global_load_ushort v36, v36, s[26:27] offset:6
	s_waitcnt vmcnt(0)
	v_fma_mix_f32 v51, v149, v36, v51 op_sel_hi:[0,1,0]
.LBB28_36:                              ;   in Loop: Header=BB28_22 Depth=1
	v_cvt_f32_f16_e32 v36, v47
	v_cvt_f32_f16_e32 v47, v48
	;; [unrolled: 1-line block ×7, first 2 shown]
	v_mov_b32_e32 v64, 0
	v_dot4c_i32_i8_e32 v64, v63, v86
	v_cvt_f32_f16_e32 v61, v61
	s_and_b64 vcc, exec, s[12:13]
	s_nop 0
	v_cvt_f32_i32_e32 v63, v64
	v_mov_b32_e32 v64, 0
	v_dot4c_i32_i8_e32 v64, v65, v87
	v_mov_b32_e32 v65, 0
	v_dot4c_i32_i8_e32 v65, v60, v88
	v_fma_f32 v63, v16, v63, -v17
	v_cvt_f32_i32_e32 v64, v64
	v_fma_f32 v63, v63, v36, 0
	v_cvt_f32_i32_e32 v60, v65
	v_mov_b32_e32 v65, 0
	v_dot4c_i32_i8_e32 v65, v62, v89
	v_fma_f32 v64, v16, v64, -v17
	v_fmac_f32_e32 v63, v64, v36
	v_fma_f32 v36, v18, v60, -v19
	v_cvt_f32_i32_e32 v62, v65
	v_mov_b32_e32 v60, 0
	v_dot4c_i32_i8_e32 v60, v58, v90
	v_fmac_f32_e32 v63, v36, v47
	v_fma_f32 v36, v18, v62, -v19
	v_fmac_f32_e32 v63, v36, v47
	v_cvt_f32_i32_e32 v58, v60
	v_mov_b32_e32 v60, 0
	v_dot4c_i32_i8_e32 v60, v59, v91
	v_mov_b32_e32 v47, 0
	v_dot4c_i32_i8_e32 v47, v56, v92
	v_fma_f32 v36, v20, v58, -v21
	v_cvt_f32_i32_e32 v59, v60
	v_fmac_f32_e32 v63, v36, v48
	v_cvt_f32_i32_e32 v47, v47
	v_mov_b32_e32 v56, 0
	v_fma_f32 v36, v20, v59, -v21
	v_dot4c_i32_i8_e32 v56, v57, v93
	v_fmac_f32_e32 v63, v36, v48
	v_fma_f32 v36, v22, v47, -v23
	v_mov_b32_e32 v47, 0
	v_cvt_f32_i32_e32 v56, v56
	v_dot4c_i32_i8_e32 v47, v50, v94
	v_fmac_f32_e32 v63, v36, v49
	v_mov_b32_e32 v48, 0
	v_fma_f32 v36, v22, v56, -v23
	v_cvt_f32_i32_e32 v47, v47
	v_dot4c_i32_i8_e32 v48, v53, v95
	v_fmac_f32_e32 v63, v36, v49
	v_fma_f32 v36, v24, v47, -v25
	v_mov_b32_e32 v47, 0
	v_cvt_f32_i32_e32 v48, v48
	v_dot4c_i32_i8_e32 v47, v45, v96
	v_fmac_f32_e32 v63, v36, v52
	v_fma_f32 v36, v24, v48, -v25
	s_nop 0
	v_cvt_f32_i32_e32 v45, v47
	v_mov_b32_e32 v47, 0
	v_dot4c_i32_i8_e32 v47, v46, v97
	v_fmac_f32_e32 v63, v36, v52
	v_fma_f32 v36, v26, v45, -v27
	v_mov_b32_e32 v45, 0
	v_cvt_f32_i32_e32 v46, v47
	v_dot4c_i32_i8_e32 v45, v43, v98
	v_fmac_f32_e32 v63, v36, v54
	v_fma_f32 v36, v26, v46, -v27
	s_nop 0
	v_cvt_f32_i32_e32 v43, v45
	v_mov_b32_e32 v45, 0
	v_fmac_f32_e32 v63, v36, v54
	v_dot4c_i32_i8_e32 v45, v44, v99
	v_fma_f32 v36, v28, v43, -v29
	v_mov_b32_e32 v43, 0
	v_dot4c_i32_i8_e32 v43, v41, v100
	v_cvt_f32_i32_e32 v44, v45
	v_fmac_f32_e32 v63, v36, v55
	v_fma_f32 v36, v28, v44, -v29
	v_cvt_f32_i32_e32 v41, v43
	v_mov_b32_e32 v43, 0
	v_dot4c_i32_i8_e32 v43, v42, v101
	v_fmac_f32_e32 v63, v36, v55
	v_fma_f32 v36, v30, v41, -v31
	v_fmac_f32_e32 v63, v36, v61
	v_cvt_f32_i32_e32 v42, v43
	v_fma_f32 v36, v30, v42, -v31
	v_fmac_f32_e32 v63, v36, v61
	ds_bpermute_b32 v36, v151, v63
	s_waitcnt lgkmcnt(0)
	v_add_f32_e32 v36, v63, v36
	ds_bpermute_b32 v41, v152, v36
	s_waitcnt lgkmcnt(0)
	v_add_f32_e32 v36, v36, v41
	s_cbranch_vccnz .LBB28_21
; %bb.37:                               ;   in Loop: Header=BB28_22 Depth=1
	global_load_ushort v32, v[32:33], off offset:6
	s_waitcnt vmcnt(0)
	v_fma_mix_f32 v36, v149, v32, v36 op_sel_hi:[0,1,0]
	s_branch .LBB28_21
.LBB28_38:
	s_cmp_eq_u64 s[44:45], 0
	s_cselect_b64 s[4:5], -1, 0
	s_cmp_lg_u32 s3, 0
	s_cselect_b64 s[6:7], -1, 0
	s_or_b64 s[4:5], s[6:7], s[4:5]
	s_or_b64 s[4:5], s[16:17], s[4:5]
	s_xor_b64 s[4:5], s[4:5], -1
	s_and_saveexec_b64 s[8:9], s[4:5]
	s_cbranch_execz .LBB28_40
; %bb.39:
	v_lshlrev_b32_e32 v16, 6, v145
	scratch_load_dwordx4 v[0:3], v16, off
	scratch_load_dwordx4 v[4:7], v16, off offset:16
	scratch_load_dwordx4 v[8:11], v16, off offset:32
	;; [unrolled: 1-line block ×3, first 2 shown]
	s_ashr_i32 s21, s20, 31
	s_lshl_b64 s[4:5], s[20:21], 2
	s_add_u32 s4, s44, s4
	s_addc_u32 s5, s45, s5
	s_load_dword s4, s[4:5], 0x0
	v_cmp_eq_u32_e32 vcc, 1, v145
	s_mov_b32 s2, 0x3fb8aa3b
	s_mov_b32 s10, 0xc2ce8ed0
	v_cndmask_b32_e32 v17, v138, v139, vcc
	v_max_f32_e32 v19, v17, v17
	s_waitcnt lgkmcnt(0)
	v_max_f32_e64 v21, s4, s4
	v_max_f32_e32 v19, v21, v19
	v_sub_f32_e32 v17, v17, v19
	v_sub_f32_e32 v21, s4, v19
	v_mul_f32_e32 v22, 0x3fb8aa3b, v17
	v_mul_f32_e32 v23, 0x3fb8aa3b, v21
	v_fma_f32 v24, v17, s2, -v22
	v_rndne_f32_e32 v25, v22
	v_fma_f32 v26, v21, s2, -v23
	v_rndne_f32_e32 v27, v23
	v_fmac_f32_e32 v24, 0x32a5705f, v17
	v_sub_f32_e32 v22, v22, v25
	v_fmac_f32_e32 v26, 0x32a5705f, v21
	v_sub_f32_e32 v23, v23, v27
	v_add_f32_e32 v22, v22, v24
	v_cvt_i32_f32_e32 v25, v25
	v_add_f32_e32 v23, v23, v26
	v_exp_f32_e32 v22, v22
	v_cvt_i32_f32_e32 v27, v27
	v_exp_f32_e32 v23, v23
	v_cmp_eq_u32_e64 s[4:5], 0, v145
	v_cndmask_b32_e32 v139, v139, v19, vcc
	v_cmp_ngt_f32_e64 s[6:7], s10, v17
	v_cndmask_b32_e64 v138, v138, v19, s[4:5]
	v_ldexp_f32 v19, v22, v25
	s_mov_b32 s11, 0x42b17218
	v_ldexp_f32 v22, v23, v27
	v_cndmask_b32_e64 v19, 0, v19, s[6:7]
	v_cmp_ngt_f32_e64 s[6:7], s10, v21
	v_mov_b32_e32 v18, 0x7f800000
	v_cndmask_b32_e32 v20, v68, v69, vcc
	v_cndmask_b32_e64 v22, 0, v22, s[6:7]
	v_cmp_nlt_f32_e64 s[6:7], s11, v17
	s_nop 1
	v_cndmask_b32_e64 v17, v18, v19, s[6:7]
	v_cmp_nlt_f32_e64 s[6:7], s11, v21
	v_cvt_f16_f32_e32 v19, v17
	s_waitcnt vmcnt(3)
	v_pk_mul_f16 v0, v19, v0 op_sel_hi:[0,1]
	v_cndmask_b32_e64 v18, v18, v22, s[6:7]
	v_cmp_eq_u32_e64 s[6:7], 0, v144
	v_pk_mul_f16 v1, v19, v1 op_sel_hi:[0,1]
	v_pk_mul_f16 v2, v19, v2 op_sel_hi:[0,1]
	v_cndmask_b32_e64 v18, 0, v18, s[6:7]
	v_fmac_f32_e32 v18, v20, v17
	v_cndmask_b32_e32 v69, v69, v18, vcc
	v_pk_mul_f16 v3, v19, v3 op_sel_hi:[0,1]
	v_cndmask_b32_e64 v68, v68, v18, s[4:5]
	s_waitcnt vmcnt(2)
	v_pk_mul_f16 v4, v19, v4 op_sel_hi:[0,1]
	v_pk_mul_f16 v5, v19, v5 op_sel_hi:[0,1]
	v_pk_mul_f16 v6, v19, v6 op_sel_hi:[0,1]
	v_pk_mul_f16 v7, v19, v7 op_sel_hi:[0,1]
	s_waitcnt vmcnt(1)
	v_pk_mul_f16 v8, v19, v8 op_sel_hi:[0,1]
	v_pk_mul_f16 v9, v19, v9 op_sel_hi:[0,1]
	v_pk_mul_f16 v10, v19, v10 op_sel_hi:[0,1]
	v_pk_mul_f16 v11, v19, v11 op_sel_hi:[0,1]
	;; [unrolled: 5-line block ×3, first 2 shown]
	scratch_store_dwordx4 v16, v[0:3], off
	scratch_store_dwordx4 v16, v[4:7], off offset:16
	scratch_store_dwordx4 v16, v[8:11], off offset:32
	;; [unrolled: 1-line block ×3, first 2 shown]
.LBB28_40:
	s_or_b64 exec, exec, s[8:9]
	v_cmp_eq_u32_e32 vcc, 0, v145
	s_and_saveexec_b64 s[4:5], vcc
	s_cbranch_execz .LBB28_42
; %bb.41:
	v_mov_b32_e32 v0, 0xfeffffff
	v_add_u32_e32 v2, 0x2000, v148
	v_mov_b32_e32 v1, 0
	ds_write2_b32 v2, v0, v0 offset1:32
	ds_write2_b32 v2, v1, v1 offset0:64 offset1:96
.LBB28_42:
	s_or_b64 exec, exec, s[4:5]
	v_cmp_eq_u32_e64 s[4:5], 0, v144
	s_waitcnt lgkmcnt(0)
	s_barrier
	s_and_saveexec_b64 s[6:7], s[4:5]
	s_cbranch_execz .LBB28_44
; %bb.43:
	v_lshlrev_b32_e32 v0, 2, v145
	v_add_u32_e32 v0, 0x2000, v0
	ds_write2_b32 v0, v138, v139 offset1:32
.LBB28_44:
	s_or_b64 exec, exec, s[6:7]
	s_cmp_lt_i32 s33, s18
	s_waitcnt lgkmcnt(0)
	s_barrier
	s_cbranch_scc1 .LBB28_46
; %bb.45:
	s_add_u32 s6, s0, 0xd0
	s_addc_u32 s7, s1, 0
	s_mul_i32 s2, s54, s18
	s_cbranch_execz .LBB28_47
	s_branch .LBB28_54
.LBB28_46:
                                        ; implicit-def: $sgpr6_sgpr7
	s_mul_i32 s2, s54, s18
.LBB28_47:
	scratch_load_dwordx4 v[8:11], off, off
	scratch_load_dwordx4 v[12:15], off, off offset:16
	v_mbcnt_hi_u32_b32 v0, -1, v150
	ds_read_b32 v4, v148 offset:8192
	v_and_b32_e32 v2, 0x60, v0
	scratch_load_dwordx4 v[16:19], off, off offset:32
	scratch_load_dwordx4 v[20:23], off, off offset:48
	v_xor_b32_e32 v3, 16, v0
	v_add_u32_e32 v6, 32, v2
	v_cmp_lt_i32_e32 vcc, v3, v6
	v_xor_b32_e32 v5, 8, v0
	v_xor_b32_e32 v26, 1, v0
	v_cndmask_b32_e32 v2, v0, v3, vcc
	v_lshlrev_b32_e32 v2, 2, v2
	s_waitcnt lgkmcnt(0)
	ds_bpermute_b32 v24, v2, v4
	v_cmp_lt_i32_e32 vcc, v5, v6
	v_max_f32_e32 v4, v4, v4
	s_mov_b32 s7, 0x3fb8aa3b
	v_cndmask_b32_e32 v3, v0, v5, vcc
	s_waitcnt lgkmcnt(0)
	v_max_f32_e32 v5, v24, v24
	v_lshlrev_b32_e32 v3, 2, v3
	v_max_f32_e32 v5, v4, v5
	ds_bpermute_b32 v24, v3, v5
	v_xor_b32_e32 v4, 4, v0
	v_cmp_lt_i32_e32 vcc, v4, v6
	s_mov_b32 s8, 0xc2ce8ed0
	v_lshlrev_b32_e32 v7, 6, v144
	v_cndmask_b32_e32 v4, v0, v4, vcc
	s_waitcnt lgkmcnt(0)
	v_max_f32_e32 v24, v24, v24
	v_lshlrev_b32_e32 v4, 2, v4
	v_max_f32_e32 v24, v5, v24
	ds_bpermute_b32 v25, v4, v24
	v_xor_b32_e32 v5, 2, v0
	v_cmp_lt_i32_e32 vcc, v5, v6
	s_mov_b32 s9, 0x42b17218
	v_and_b32_e32 v7, 0x1e00, v7
	v_cndmask_b32_e32 v5, v0, v5, vcc
	s_waitcnt lgkmcnt(0)
	v_max_f32_e32 v25, v25, v25
	v_lshlrev_b32_e32 v5, 2, v5
	v_max_f32_e32 v24, v24, v25
	ds_bpermute_b32 v25, v5, v24
	v_cmp_lt_i32_e32 vcc, v26, v6
	v_lshlrev_b32_e32 v1, 4, v144
	s_add_u32 s6, s0, 0xd0
	v_cndmask_b32_e32 v0, v0, v26, vcc
	v_lshlrev_b32_e32 v6, 2, v0
	s_waitcnt lgkmcnt(0)
	v_max_f32_e32 v0, v25, v25
	v_max_f32_e32 v0, v24, v0
	ds_bpermute_b32 v24, v6, v0
	v_mov_b32_e32 v25, 0x7f800000
	s_load_dword s10, s[0:1], 0xd4
	s_movk_i32 s0, 0x70
	v_lshl_add_u32 v7, v145, 11, v7
	s_waitcnt lgkmcnt(0)
	v_max_f32_e32 v24, v24, v24
	v_max_f32_e32 v0, v0, v24
	v_sub_f32_e32 v24, v138, v0
	v_mul_f32_e32 v26, 0x3fb8aa3b, v24
	v_fma_f32 v27, v24, s7, -v26
	v_rndne_f32_e32 v28, v26
	v_fmamk_f32 v27, v24, 0x32a5705f, v27
	v_sub_f32_e32 v26, v26, v28
	v_add_f32_e32 v26, v26, v27
	v_cvt_i32_f32_e32 v28, v28
	v_exp_f32_e32 v26, v26
	v_cmp_ngt_f32_e32 vcc, s8, v24
	v_and_or_b32 v7, v1, s0, v7
	s_addc_u32 s7, s1, 0
	v_ldexp_f32 v26, v26, v28
	v_cndmask_b32_e32 v26, 0, v26, vcc
	v_cmp_nlt_f32_e32 vcc, s9, v24
	s_nop 1
	v_cndmask_b32_e32 v28, v25, v26, vcc
	v_mul_f32_e32 v1, v68, v28
	ds_bpermute_b32 v1, v2, v1
	v_cvt_f16_f32_e32 v29, v28
	s_waitcnt lgkmcnt(0)
	v_fmac_f32_e32 v1, v68, v28
	s_waitcnt vmcnt(3)
	v_pk_mul_f16 v24, v29, v8 op_sel_hi:[0,1]
	ds_bpermute_b32 v8, v3, v1
	v_pk_mul_f16 v25, v29, v9 op_sel_hi:[0,1]
	v_pk_mul_f16 v26, v29, v10 op_sel_hi:[0,1]
	v_pk_mul_f16 v27, v29, v11 op_sel_hi:[0,1]
	s_waitcnt vmcnt(2)
	v_pk_mul_f16 v10, v29, v12 op_sel_hi:[0,1]
	s_waitcnt lgkmcnt(0)
	v_add_f32_e32 v1, v1, v8
	ds_bpermute_b32 v8, v4, v1
	v_pk_mul_f16 v11, v29, v13 op_sel_hi:[0,1]
	v_pk_mul_f16 v12, v29, v14 op_sel_hi:[0,1]
	v_pk_mul_f16 v13, v29, v15 op_sel_hi:[0,1]
	s_waitcnt vmcnt(1)
	v_pk_mul_f16 v14, v29, v16 op_sel_hi:[0,1]
	s_waitcnt lgkmcnt(0)
	v_add_f32_e32 v1, v1, v8
	;; [unrolled: 8-line block ×3, first 2 shown]
	ds_bpermute_b32 v8, v6, v1
	v_pk_mul_f16 v19, v29, v21 op_sel_hi:[0,1]
	v_pk_mul_f16 v20, v29, v22 op_sel_hi:[0,1]
	;; [unrolled: 1-line block ×3, first 2 shown]
	scratch_store_dwordx4 off, v[24:27], off
	scratch_store_dwordx4 off, v[10:13], off offset:16
	scratch_store_dwordx4 off, v[14:17], off offset:32
	;; [unrolled: 1-line block ×3, first 2 shown]
	ds_write_b128 v7, v[24:27]
	ds_write_b128 v7, v[10:13] offset:128
	ds_write_b128 v7, v[14:17] offset:256
	ds_write_b128 v7, v[18:21] offset:384
	s_and_saveexec_b64 s[0:1], s[4:5]
	s_cbranch_execz .LBB28_49
; %bb.48:
	s_waitcnt lgkmcnt(4)
	v_add_f32_e32 v1, v1, v8
	v_lshlrev_b32_e32 v8, 2, v145
	ds_write_b32 v8, v1 offset:8448
.LBB28_49:
	s_or_b64 exec, exec, s[0:1]
	s_waitcnt lgkmcnt(0)
	s_barrier
	ds_read_b32 v1, v148 offset:8448
	ds_read_u16 v8, v147
	ds_read_u16 v9, v147 offset:1280
	ds_read_u16 v10, v147 offset:768
	;; [unrolled: 1-line block ×3, first 2 shown]
	s_waitcnt lgkmcnt(4)
	ds_bpermute_b32 v12, v2, v1
	ds_read_u16 v13, v147 offset:512
	ds_read_u16 v14, v147 offset:1024
	;; [unrolled: 1-line block ×4, first 2 shown]
	s_waitcnt lgkmcnt(8)
	v_cvt_f32_f16_e32 v8, v8
	s_waitcnt lgkmcnt(3)
	v_cvt_f32_f16_e32 v13, v13
	ds_read_u16 v17, v147 offset:3584
	ds_read_u16 v18, v147 offset:3328
	;; [unrolled: 1-line block ×4, first 2 shown]
	v_add_f32_e32 v1, v1, v12
	ds_bpermute_b32 v12, v3, v1
	v_add_f32_e32 v8, 0, v8
	v_add_f32_e32 v8, v8, v13
	ds_read_u16 v13, v147 offset:2560
	s_waitcnt lgkmcnt(8)
	v_cvt_f32_f16_e32 v14, v14
	s_waitcnt lgkmcnt(1)
	v_add_f32_e32 v1, v1, v12
	ds_bpermute_b32 v12, v4, v1
	v_cvt_f32_f16_e32 v15, v15
	v_add_f32_e32 v8, v8, v14
	s_waitcnt lgkmcnt(1)
	v_cvt_f32_f16_e32 v13, v13
	v_cvt_f32_f16_e32 v11, v11
	s_waitcnt lgkmcnt(0)
	v_add_f32_e32 v1, v1, v12
	ds_bpermute_b32 v12, v5, v1
	v_add_f32_e32 v8, v8, v15
	v_cvt_f32_f16_e32 v15, v19
	v_cvt_f32_f16_e32 v10, v10
	;; [unrolled: 1-line block ×3, first 2 shown]
	s_waitcnt lgkmcnt(0)
	v_add_f32_e32 v1, v1, v12
	ds_bpermute_b32 v12, v6, v1
	v_add_f32_e32 v11, 0, v11
	v_add_f32_e32 v10, v11, v10
	;; [unrolled: 1-line block ×3, first 2 shown]
	v_cvt_f32_f16_e32 v11, v20
	s_waitcnt lgkmcnt(0)
	v_add_f32_e32 v68, v1, v12
	v_cvt_f32_f16_e32 v1, v16
	v_cvt_f32_f16_e32 v16, v17
	ds_read_u16 v12, v147 offset:2304
	ds_read_u16 v14, v147 offset:1792
	s_cmp_eq_u32 s10, 1
	v_add_f32_e32 v1, v8, v1
	v_add_f32_e32 v1, v1, v13
	v_add_f32_e32 v1, v1, v15
	v_add_f32_e32 v1, v1, v16
	ds_read_u16 v8, v147 offset:4096
	ds_read_u16 v13, v147 offset:4608
	;; [unrolled: 1-line block ×8, first 2 shown]
	s_waitcnt lgkmcnt(7)
	v_cvt_f32_f16_e32 v8, v8
	s_waitcnt lgkmcnt(6)
	v_cvt_f32_f16_e32 v13, v13
	;; [unrolled: 2-line block ×3, first 2 shown]
	v_cvt_f32_f16_e32 v15, v15
	v_add_f32_e32 v1, v1, v8
	v_add_f32_e32 v1, v1, v13
	;; [unrolled: 1-line block ×3, first 2 shown]
	v_cvt_f32_f16_e32 v14, v14
	v_add_f32_e32 v1, v1, v15
	ds_read_u16 v8, v147 offset:6144
	ds_read_u16 v13, v147 offset:6656
	;; [unrolled: 1-line block ×8, first 2 shown]
	v_cvt_f32_f16_e32 v10, v12
	s_waitcnt lgkmcnt(7)
	v_cvt_f32_f16_e32 v8, v8
	s_waitcnt lgkmcnt(6)
	v_cvt_f32_f16_e32 v13, v13
	s_waitcnt lgkmcnt(3)
	v_cvt_f32_f16_e32 v23, v23
	v_add_f32_e32 v9, v9, v14
	v_cvt_f32_f16_e32 v12, v18
	v_cvt_f32_f16_e32 v15, v15
	v_add_f32_e32 v9, v9, v10
	v_cvt_f32_f16_e32 v10, v22
	v_add_f32_e32 v1, v1, v8
	v_add_f32_e32 v1, v1, v13
	;; [unrolled: 1-line block ×3, first 2 shown]
	v_cvt_f32_f16_e32 v11, v21
	v_add_f32_e32 v1, v1, v23
	v_add_f32_e32 v9, v9, v12
	;; [unrolled: 1-line block ×4, first 2 shown]
	v_cvt_f32_f16_e32 v10, v19
	v_div_scale_f32 v1, s[0:1], v68, v68, v8
	v_cvt_f32_f16_e32 v12, v16
	v_rcp_f32_e32 v13, v1
	v_add_f32_e32 v9, v9, v11
	s_waitcnt lgkmcnt(0)
	v_cvt_f32_f16_e32 v11, v26
	v_add_f32_e32 v9, v9, v10
	ds_read_u16 v10, v147 offset:7936
	v_add_f32_e32 v9, v9, v12
	v_fma_f32 v15, -v1, v13, 1.0
	v_add_f32_e32 v9, v9, v11
	v_cvt_f32_f16_e32 v11, v25
	v_fmac_f32_e32 v13, v15, v13
	v_div_scale_f32 v15, vcc, v8, v68, v8
	v_cvt_f32_f16_e32 v12, v24
	v_mul_f32_e32 v23, v15, v13
	v_cvt_f32_f16_e32 v14, v17
	v_fma_f32 v27, -v1, v23, v15
	s_cselect_b64 s[0:1], -1, 0
	s_add_i32 s8, s2, s33
	s_waitcnt lgkmcnt(0)
	v_cvt_f32_f16_e32 v10, v10
	v_fmac_f32_e32 v23, v27, v13
	s_mul_i32 s11, s8, s19
	v_add_f32_e32 v9, v9, v11
	v_fma_f32 v1, -v1, v23, v15
	s_add_i32 s11, s11, s20
	v_add_f32_e32 v9, v9, v12
	v_div_fmas_f32 v1, v1, v13, v23
	s_mul_i32 s8, s10, s11
	v_add_f32_e32 v9, v9, v14
	v_div_fixup_f32 v13, v1, v68, v8
	s_add_i32 s8, s8, s3
	v_add_f32_e32 v10, v9, v10
	v_cndmask_b32_e64 v13, v8, v13, s[0:1]
	v_lshl_or_b32 v8, s8, 8, v146
	v_div_scale_f32 v11, s[8:9], v68, v68, v10
	v_rcp_f32_e32 v12, v11
	v_mov_b32_e32 v9, 0
	v_lshl_add_u64 v[8:9], v[8:9], 2, s[48:49]
	global_store_dword v[8:9], v13, off
	v_fma_f32 v13, -v11, v12, 1.0
	v_fmac_f32_e32 v12, v13, v12
	v_div_scale_f32 v13, vcc, v10, v68, v10
	v_mul_f32_e32 v14, v13, v12
	v_fma_f32 v15, -v11, v14, v13
	v_fmac_f32_e32 v14, v15, v12
	v_fma_f32 v11, -v11, v14, v13
	v_div_fmas_f32 v11, v11, v12, v14
	v_div_fixup_f32 v11, v11, v68, v10
	s_or_b32 s8, s33, 1
	v_mov_b32_e32 v1, v139
	v_cndmask_b32_e64 v10, v10, v11, s[0:1]
	s_cmp_ge_i32 s8, s18
	global_store_dword v[8:9], v10, off offset:512
	s_barrier
	s_cbranch_scc1 .LBB28_53
; %bb.50:
	v_or_b32_e32 v1, 0x2000, v148
	ds_read_b32 v1, v1 offset:128
	scratch_load_dwordx4 v[12:15], off, off offset:64
	scratch_load_dwordx4 v[16:19], off, off offset:80
	;; [unrolled: 1-line block ×4, first 2 shown]
	s_waitcnt lgkmcnt(0)
	ds_bpermute_b32 v8, v2, v1
	v_max_f32_e32 v1, v1, v1
	s_mov_b32 s8, 0x3fb8aa3b
	s_mov_b32 s9, 0x42b17218
	v_or_b32_e32 v28, 0x100, v7
	s_waitcnt lgkmcnt(0)
	v_max_f32_e32 v8, v8, v8
	v_max_f32_e32 v1, v1, v8
	ds_bpermute_b32 v8, v3, v1
	v_or_b32_e32 v29, 0x180, v7
	s_waitcnt lgkmcnt(0)
	v_max_f32_e32 v8, v8, v8
	v_max_f32_e32 v1, v1, v8
	ds_bpermute_b32 v8, v4, v1
	s_waitcnt lgkmcnt(0)
	v_max_f32_e32 v8, v8, v8
	v_max_f32_e32 v1, v1, v8
	ds_bpermute_b32 v8, v5, v1
	;; [unrolled: 4-line block ×3, first 2 shown]
	s_waitcnt lgkmcnt(0)
	v_max_f32_e32 v8, v8, v8
	v_max_f32_e32 v1, v1, v8
	v_sub_f32_e32 v8, v139, v1
	v_mul_f32_e32 v9, 0x3fb8aa3b, v8
	v_fma_f32 v10, v8, s8, -v9
	v_rndne_f32_e32 v11, v9
	v_fmamk_f32 v10, v8, 0x32a5705f, v10
	v_sub_f32_e32 v9, v9, v11
	v_add_f32_e32 v9, v9, v10
	v_cvt_i32_f32_e32 v11, v11
	v_exp_f32_e32 v9, v9
	s_mov_b32 s8, 0xc2ce8ed0
	v_cmp_ngt_f32_e32 vcc, s8, v8
	v_mov_b32_e32 v10, 0x7f800000
	v_ldexp_f32 v9, v9, v11
	v_cndmask_b32_e32 v9, 0, v9, vcc
	v_cmp_nlt_f32_e32 vcc, s9, v8
	v_or_b32_e32 v11, 0x80, v7
	s_nop 0
	v_cndmask_b32_e32 v8, v10, v9, vcc
	v_mul_f32_e32 v9, v69, v8
	ds_bpermute_b32 v9, v2, v9
	v_cvt_f16_f32_e32 v30, v8
	s_waitcnt lgkmcnt(0)
	v_fmac_f32_e32 v9, v69, v8
	ds_bpermute_b32 v10, v3, v9
	v_add_u32_e32 v8, 0x2100, v148
	s_waitcnt lgkmcnt(0)
	v_add_f32_e32 v9, v9, v10
	ds_bpermute_b32 v10, v4, v9
	s_waitcnt lgkmcnt(0)
	v_add_f32_e32 v9, v9, v10
	ds_bpermute_b32 v10, v5, v9
	s_waitcnt vmcnt(3)
	v_pk_mul_f16 v12, v30, v12 op_sel_hi:[0,1]
	s_waitcnt lgkmcnt(0)
	v_add_f32_e32 v9, v9, v10
	ds_bpermute_b32 v10, v6, v9
	v_pk_mul_f16 v13, v30, v13 op_sel_hi:[0,1]
	v_pk_mul_f16 v14, v30, v14 op_sel_hi:[0,1]
	v_pk_mul_f16 v15, v30, v15 op_sel_hi:[0,1]
	s_waitcnt vmcnt(2)
	v_pk_mul_f16 v16, v30, v16 op_sel_hi:[0,1]
	v_pk_mul_f16 v17, v30, v17 op_sel_hi:[0,1]
	v_pk_mul_f16 v18, v30, v18 op_sel_hi:[0,1]
	v_pk_mul_f16 v19, v30, v19 op_sel_hi:[0,1]
	s_waitcnt vmcnt(1)
	v_pk_mul_f16 v20, v30, v20 op_sel_hi:[0,1]
	;; [unrolled: 5-line block ×3, first 2 shown]
	v_pk_mul_f16 v25, v30, v25 op_sel_hi:[0,1]
	v_pk_mul_f16 v26, v30, v26 op_sel_hi:[0,1]
	;; [unrolled: 1-line block ×3, first 2 shown]
	scratch_store_dwordx4 off, v[12:15], off offset:64
	scratch_store_dwordx4 off, v[16:19], off offset:80
	scratch_store_dwordx4 off, v[20:23], off offset:96
	scratch_store_dwordx4 off, v[24:27], off offset:112
	ds_write_b128 v7, v[12:15]
	ds_write_b128 v11, v[16:19]
	ds_write_b128 v28, v[20:23]
	ds_write_b128 v29, v[24:27]
	s_and_saveexec_b64 s[8:9], s[4:5]
	s_cbranch_execz .LBB28_52
; %bb.51:
	v_lshlrev_b32_e32 v7, 2, v145
	s_waitcnt lgkmcnt(4)
	v_add_f32_e32 v9, v9, v10
	ds_write_b32 v7, v9 offset:8576
.LBB28_52:
	s_or_b64 exec, exec, s[8:9]
	s_waitcnt lgkmcnt(0)
	s_barrier
	ds_read_b32 v7, v8 offset:128
	ds_read_u16 v8, v147
	ds_read_u16 v9, v147 offset:1280
	ds_read_u16 v10, v147 offset:768
	;; [unrolled: 1-line block ×3, first 2 shown]
	s_waitcnt lgkmcnt(4)
	ds_bpermute_b32 v2, v2, v7
	s_add_i32 s11, s11, s19
	s_waitcnt lgkmcnt(3)
	v_cvt_f32_f16_e32 v9, v9
	s_waitcnt lgkmcnt(2)
	v_cvt_f32_f16_e32 v10, v10
	;; [unrolled: 2-line block ×3, first 2 shown]
	s_waitcnt lgkmcnt(0)
	v_add_f32_e32 v2, v7, v2
	ds_bpermute_b32 v3, v3, v2
	ds_read_u16 v7, v147 offset:512
	ds_read_u16 v12, v147 offset:1024
	;; [unrolled: 1-line block ×3, first 2 shown]
	v_add_f32_e32 v11, 0, v11
	v_add_f32_e32 v10, v11, v10
	s_waitcnt lgkmcnt(2)
	v_cvt_f32_f16_e32 v7, v7
	v_add_f32_e32 v2, v2, v3
	ds_bpermute_b32 v3, v4, v2
	ds_read_u16 v4, v147 offset:2048
	ds_read_u16 v14, v147 offset:2560
	v_add_f32_e32 v9, v10, v9
	s_mul_i32 s4, s10, s11
	s_add_i32 s8, s4, s3
	s_waitcnt lgkmcnt(2)
	v_add_f32_e32 v2, v2, v3
	ds_bpermute_b32 v3, v5, v2
	v_cvt_f32_f16_e32 v5, v8
	v_cvt_f32_f16_e32 v8, v12
	v_cvt_f32_f16_e32 v12, v13
	s_waitcnt lgkmcnt(2)
	v_cvt_f32_f16_e32 v4, v4
	s_waitcnt lgkmcnt(0)
	v_add_f32_e32 v2, v2, v3
	ds_bpermute_b32 v3, v6, v2
	v_add_f32_e32 v5, 0, v5
	v_add_f32_e32 v5, v5, v7
	;; [unrolled: 1-line block ×4, first 2 shown]
	s_waitcnt lgkmcnt(0)
	v_add_f32_e32 v69, v2, v3
	ds_read_u16 v2, v147 offset:3584
	ds_read_u16 v6, v147 offset:3328
	;; [unrolled: 1-line block ×6, first 2 shown]
	v_cvt_f32_f16_e32 v13, v14
	s_waitcnt lgkmcnt(3)
	v_cvt_f32_f16_e32 v3, v3
	v_cvt_f32_f16_e32 v2, v2
	v_add_f32_e32 v4, v5, v4
	v_add_f32_e32 v4, v4, v13
	;; [unrolled: 1-line block ×4, first 2 shown]
	ds_read_u16 v3, v147 offset:4096
	ds_read_u16 v4, v147 offset:4608
	;; [unrolled: 1-line block ×8, first 2 shown]
	s_waitcnt lgkmcnt(7)
	v_cvt_f32_f16_e32 v3, v3
	s_waitcnt lgkmcnt(6)
	v_cvt_f32_f16_e32 v4, v4
	;; [unrolled: 2-line block ×3, first 2 shown]
	v_cvt_f32_f16_e32 v12, v12
	v_cvt_f32_f16_e32 v5, v5
	;; [unrolled: 1-line block ×3, first 2 shown]
	v_add_f32_e32 v2, v2, v3
	v_cvt_f32_f16_e32 v7, v7
	v_add_f32_e32 v2, v2, v4
	v_cvt_f32_f16_e32 v6, v6
	v_add_f32_e32 v2, v2, v14
	v_add_f32_e32 v9, v9, v12
	;; [unrolled: 1-line block ×3, first 2 shown]
	ds_read_u16 v3, v147 offset:6144
	ds_read_u16 v4, v147 offset:6656
	;; [unrolled: 1-line block ×8, first 2 shown]
	v_add_f32_e32 v8, v9, v8
	s_waitcnt lgkmcnt(7)
	v_cvt_f32_f16_e32 v3, v3
	v_cvt_f32_f16_e32 v9, v17
	v_add_f32_e32 v7, v8, v7
	s_waitcnt lgkmcnt(6)
	v_cvt_f32_f16_e32 v4, v4
	v_add_f32_e32 v6, v7, v6
	v_cvt_f32_f16_e32 v7, v16
	s_waitcnt lgkmcnt(3)
	v_cvt_f32_f16_e32 v18, v18
	v_cvt_f32_f16_e32 v5, v5
	;; [unrolled: 1-line block ×3, first 2 shown]
	v_add_f32_e32 v2, v2, v3
	v_add_f32_e32 v6, v6, v9
	v_cvt_f32_f16_e32 v9, v13
	v_add_f32_e32 v2, v2, v4
	v_add_f32_e32 v6, v6, v7
	s_waitcnt lgkmcnt(0)
	v_cvt_f32_f16_e32 v7, v21
	v_add_f32_e32 v2, v2, v18
	v_add_f32_e32 v4, v2, v5
	;; [unrolled: 1-line block ×3, first 2 shown]
	ds_read_u16 v8, v147 offset:7936
	v_div_scale_f32 v5, s[4:5], v69, v69, v4
	v_add_f32_e32 v6, v6, v9
	v_rcp_f32_e32 v18, v5
	v_add_f32_e32 v6, v6, v7
	v_cvt_f32_f16_e32 v7, v20
	v_cvt_f32_f16_e32 v9, v19
	;; [unrolled: 1-line block ×3, first 2 shown]
	s_waitcnt lgkmcnt(0)
	v_cvt_f32_f16_e32 v8, v8
	v_fma_f32 v22, -v5, v18, 1.0
	v_add_f32_e32 v6, v6, v7
	v_fmac_f32_e32 v18, v22, v18
	v_div_scale_f32 v22, vcc, v4, v69, v4
	v_add_f32_e32 v6, v6, v9
	v_mul_f32_e32 v23, v22, v18
	v_add_f32_e32 v6, v6, v10
	v_fma_f32 v24, -v5, v23, v22
	v_add_f32_e32 v6, v6, v8
	v_fmac_f32_e32 v23, v24, v18
	v_div_scale_f32 v7, s[4:5], v69, v69, v6
	v_fma_f32 v5, -v5, v23, v22
	v_rcp_f32_e32 v8, v7
	v_div_fmas_f32 v5, v5, v18, v23
	v_lshl_or_b32 v2, s8, 8, v146
	v_mov_b32_e32 v3, 0
	v_div_fixup_f32 v5, v5, v69, v4
	v_lshl_add_u64 v[2:3], v[2:3], 2, s[48:49]
	v_cndmask_b32_e64 v4, v4, v5, s[0:1]
	global_store_dword v[2:3], v4, off
	v_fma_f32 v4, -v7, v8, 1.0
	v_fmac_f32_e32 v8, v4, v8
	v_div_scale_f32 v4, vcc, v6, v69, v6
	v_mul_f32_e32 v5, v4, v8
	v_fma_f32 v9, -v7, v5, v4
	v_fmac_f32_e32 v5, v9, v8
	v_fma_f32 v4, -v7, v5, v4
	v_div_fmas_f32 v4, v4, v8, v5
	v_div_fixup_f32 v4, v4, v69, v6
	v_cndmask_b32_e64 v4, v6, v4, s[0:1]
	global_store_dword v[2:3], v4, off offset:512
.LBB28_53:
	v_mov_b64_e32 v[138:139], v[0:1]
.LBB28_54:
	s_load_dword s0, s[6:7], 0x4
	v_cmp_gt_u32_e32 vcc, 2, v146
	v_or_b32_e32 v0, s33, v144
	s_waitcnt lgkmcnt(0)
	s_cmp_lg_u32 s0, 1
	s_cselect_b64 s[4:5], -1, 0
	s_and_b64 s[4:5], vcc, s[4:5]
	v_cmp_gt_i32_e32 vcc, s18, v0
	s_and_b64 s[4:5], s[4:5], vcc
	s_and_saveexec_b64 s[6:7], s[4:5]
	s_cbranch_execz .LBB28_56
; %bb.55:
	v_add_u32_e32 v0, s2, v0
	v_mul_lo_u32 v0, v0, s19
	v_add_u32_e32 v0, s20, v0
	v_mul_lo_u32 v0, s0, v0
	v_mov_b32_e32 v2, s50
	v_mov_b32_e32 v3, s51
	v_cmp_eq_u32_e32 vcc, 1, v146
	v_add_u32_e32 v0, s3, v0
	v_mov_b32_e32 v1, 0
	v_cndmask_b32_e32 v4, v138, v139, vcc
	v_cndmask_b32_e32 v5, v68, v69, vcc
	v_lshl_add_u64 v[0:1], v[0:1], 3, v[2:3]
	global_store_dwordx2 v[0:1], v[4:5], off
.LBB28_56:
	s_endpgm
	.section	.rodata,"a",@progbits
	.p2align	6, 0x0
	.amdhsa_kernel _ZL18flash_attn_ext_vecILi256ELi2EL9ggml_type2ELS0_30ELb0EEvPKcS2_S2_S2_S2_PKiPfP15HIP_vector_typeIfLj2EEffffjfiS6_IjLj3EEiiiiiiiiiiiliiliiiiil
		.amdhsa_group_segment_fixed_size 8704
		.amdhsa_private_segment_fixed_size 144
		.amdhsa_kernarg_size 464
		.amdhsa_user_sgpr_count 2
		.amdhsa_user_sgpr_dispatch_ptr 0
		.amdhsa_user_sgpr_queue_ptr 0
		.amdhsa_user_sgpr_kernarg_segment_ptr 1
		.amdhsa_user_sgpr_dispatch_id 0
		.amdhsa_user_sgpr_kernarg_preload_length 0
		.amdhsa_user_sgpr_kernarg_preload_offset 0
		.amdhsa_user_sgpr_private_segment_size 0
		.amdhsa_uses_dynamic_stack 0
		.amdhsa_enable_private_segment 1
		.amdhsa_system_sgpr_workgroup_id_x 1
		.amdhsa_system_sgpr_workgroup_id_y 1
		.amdhsa_system_sgpr_workgroup_id_z 1
		.amdhsa_system_sgpr_workgroup_info 0
		.amdhsa_system_vgpr_workitem_id 1
		.amdhsa_next_free_vgpr 172
		.amdhsa_next_free_sgpr 60
		.amdhsa_accum_offset 172
		.amdhsa_reserve_vcc 1
		.amdhsa_float_round_mode_32 0
		.amdhsa_float_round_mode_16_64 0
		.amdhsa_float_denorm_mode_32 3
		.amdhsa_float_denorm_mode_16_64 3
		.amdhsa_dx10_clamp 1
		.amdhsa_ieee_mode 1
		.amdhsa_fp16_overflow 0
		.amdhsa_tg_split 0
		.amdhsa_exception_fp_ieee_invalid_op 0
		.amdhsa_exception_fp_denorm_src 0
		.amdhsa_exception_fp_ieee_div_zero 0
		.amdhsa_exception_fp_ieee_overflow 0
		.amdhsa_exception_fp_ieee_underflow 0
		.amdhsa_exception_fp_ieee_inexact 0
		.amdhsa_exception_int_div_zero 0
	.end_amdhsa_kernel
	.section	.text._ZL18flash_attn_ext_vecILi256ELi2EL9ggml_type2ELS0_30ELb0EEvPKcS2_S2_S2_S2_PKiPfP15HIP_vector_typeIfLj2EEffffjfiS6_IjLj3EEiiiiiiiiiiiliiliiiiil,"axG",@progbits,_ZL18flash_attn_ext_vecILi256ELi2EL9ggml_type2ELS0_30ELb0EEvPKcS2_S2_S2_S2_PKiPfP15HIP_vector_typeIfLj2EEffffjfiS6_IjLj3EEiiiiiiiiiiiliiliiiiil,comdat
.Lfunc_end28:
	.size	_ZL18flash_attn_ext_vecILi256ELi2EL9ggml_type2ELS0_30ELb0EEvPKcS2_S2_S2_S2_PKiPfP15HIP_vector_typeIfLj2EEffffjfiS6_IjLj3EEiiiiiiiiiiiliiliiiiil, .Lfunc_end28-_ZL18flash_attn_ext_vecILi256ELi2EL9ggml_type2ELS0_30ELb0EEvPKcS2_S2_S2_S2_PKiPfP15HIP_vector_typeIfLj2EEffffjfiS6_IjLj3EEiiiiiiiiiiiliiliiiiil
                                        ; -- End function
	.section	.AMDGPU.csdata,"",@progbits
; Kernel info:
; codeLenInByte = 22808
; NumSgprs: 66
; NumVgprs: 172
; NumAgprs: 0
; TotalNumVgprs: 172
; ScratchSize: 144
; MemoryBound: 0
; FloatMode: 240
; IeeeMode: 1
; LDSByteSize: 8704 bytes/workgroup (compile time only)
; SGPRBlocks: 8
; VGPRBlocks: 21
; NumSGPRsForWavesPerEU: 66
; NumVGPRsForWavesPerEU: 172
; AccumOffset: 172
; Occupancy: 2
; WaveLimiterHint : 0
; COMPUTE_PGM_RSRC2:SCRATCH_EN: 1
; COMPUTE_PGM_RSRC2:USER_SGPR: 2
; COMPUTE_PGM_RSRC2:TRAP_HANDLER: 0
; COMPUTE_PGM_RSRC2:TGID_X_EN: 1
; COMPUTE_PGM_RSRC2:TGID_Y_EN: 1
; COMPUTE_PGM_RSRC2:TGID_Z_EN: 1
; COMPUTE_PGM_RSRC2:TIDIG_COMP_CNT: 1
; COMPUTE_PGM_RSRC3_GFX90A:ACCUM_OFFSET: 42
; COMPUTE_PGM_RSRC3_GFX90A:TG_SPLIT: 0
	.section	.text._ZL33flash_attn_stream_k_fixup_uniformILi256ELi2ELi1EEvPfPK15HIP_vector_typeIfLj2EEiiiiiiS1_IjLj3EES5_S5_,"axG",@progbits,_ZL33flash_attn_stream_k_fixup_uniformILi256ELi2ELi1EEvPfPK15HIP_vector_typeIfLj2EEiiiiiiS1_IjLj3EES5_S5_,comdat
	.globl	_ZL33flash_attn_stream_k_fixup_uniformILi256ELi2ELi1EEvPfPK15HIP_vector_typeIfLj2EEiiiiiiS1_IjLj3EES5_S5_ ; -- Begin function _ZL33flash_attn_stream_k_fixup_uniformILi256ELi2ELi1EEvPfPK15HIP_vector_typeIfLj2EEiiiiiiS1_IjLj3EES5_S5_
	.p2align	8
	.type	_ZL33flash_attn_stream_k_fixup_uniformILi256ELi2ELi1EEvPfPK15HIP_vector_typeIfLj2EEiiiiiiS1_IjLj3EES5_S5_,@function
_ZL33flash_attn_stream_k_fixup_uniformILi256ELi2ELi1EEvPfPK15HIP_vector_typeIfLj2EEiiiiiiS1_IjLj3EES5_S5_: ; @_ZL33flash_attn_stream_k_fixup_uniformILi256ELi2ELi1EEvPfPK15HIP_vector_typeIfLj2EEiiiiiiS1_IjLj3EES5_S5_
; %bb.0:
	s_load_dwordx8 s[8:15], s[0:1], 0x1c
	s_load_dwordx2 s[6:7], s[0:1], 0x10
	s_load_dwordx4 s[20:23], s[0:1], 0x3c
	s_waitcnt lgkmcnt(0)
	s_mul_hi_u32 s5, s11, s2
	s_add_i32 s5, s2, s5
	s_lshr_b32 s5, s5, s12
	s_mul_i32 s11, s5, s13
	s_sub_i32 s11, s2, s11
	s_mul_hi_u32 s12, s11, s14
	s_add_i32 s12, s11, s12
	s_lshr_b32 s16, s12, s15
	s_mul_i32 s12, s16, s20
	s_sub_i32 s12, s11, s12
	;; [unrolled: 5-line block ×3, first 2 shown]
	s_lshl_b32 s12, s17, 1
	s_add_i32 s12, s12, s3
	s_cmp_lt_i32 s12, s6
	s_cselect_b64 s[12:13], -1, 0
	s_add_i32 s14, s11, s4
	s_cmp_lt_i32 s14, s9
	s_cselect_b64 s[14:15], -1, 0
	s_and_b64 s[12:13], s[12:13], s[14:15]
	s_andn2_b64 vcc, exec, s[12:13]
	s_cbranch_vccnz .LBB29_6
; %bb.1:
	s_load_dwordx4 s[12:15], s[0:1], 0x0
	s_mul_i32 s0, s5, s6
	s_add_i32 s0, s0, s3
	s_mul_i32 s0, s0, s7
	s_mul_i32 s16, s16, s9
	s_add_i32 s0, s0, s4
	s_add_i32 s0, s0, s16
	s_mul_i32 s1, s7, s17
	s_add_i32 s0, s0, s11
	s_lshl_b32 s1, s1, 9
	s_lshl_b32 s0, s0, 8
	s_add_i32 s1, s1, s0
	v_or_b32_e32 v4, s1, v0
	s_waitcnt lgkmcnt(0)
	v_mov_b32_e32 v2, s12
	v_mov_b32_e32 v3, s13
	v_ashrrev_i32_e32 v5, 31, v4
	v_lshl_add_u64 v[2:3], v[4:5], 2, v[2:3]
	global_load_dword v7, v[2:3], off
	s_mul_i32 s6, s2, s10
	s_add_i32 s7, s6, s10
	s_add_i32 s3, s3, s4
	s_lshl_b32 s0, s7, 1
	s_add_i32 s0, s3, s0
	s_add_i32 s0, s0, -2
	s_ashr_i32 s1, s0, 31
	s_lshl_b64 s[0:1], s[0:1], 3
	s_add_u32 s0, s14, s0
	s_addc_u32 s1, s15, s1
	s_load_dword s9, s[0:1], 0x4
	s_add_i32 s4, s7, -2
	s_cmp_lt_i32 s4, s6
	s_cbranch_scc1 .LBB29_4
; %bb.2:
	s_lshl_b32 s4, s8, 3
	s_ashr_i32 s5, s4, 31
	s_lshl_b64 s[4:5], s[4:5], 2
	s_add_u32 s4, s14, s4
	s_addc_u32 s5, s15, s5
	s_add_i32 s2, s2, 1
	s_mul_i32 s2, s10, s2
	s_load_dword s0, s[0:1], 0x0
	s_lshl_b32 s1, s3, 8
	s_lshl_b32 s10, s2, 9
	s_add_i32 s1, s1, s10
	v_or_b32_e32 v0, s1, v0
	s_lshl_b32 s1, s2, 1
	s_add_i32 s1, s3, s1
	s_lshl_b32 s2, s8, 1
	s_add_i32 s1, s1, s2
	s_add_i32 s7, s7, -1
	v_add_u32_e32 v0, 0xfffffc00, v0
	s_add_i32 s2, s1, -4
	s_waitcnt lgkmcnt(0)
	v_mov_b32_e32 v6, s9
	v_mov_b32_e32 v5, s0
	s_mov_b32 s8, 0x3fb8aa3b
	s_mov_b32 s9, 0xc2ce8ed0
	;; [unrolled: 1-line block ×3, first 2 shown]
	v_mov_b32_e32 v4, 0x7f800000
	s_mov_b32 s11, 0xc1a00000
.LBB29_3:                               ; =>This Inner Loop Header: Depth=1
	v_ashrrev_i32_e32 v1, 31, v0
	v_lshl_add_u64 v[8:9], v[0:1], 2, s[4:5]
	global_load_dword v1, v[8:9], off
	s_ashr_i32 s3, s2, 31
	s_lshl_b64 s[0:1], s[2:3], 3
	s_add_u32 s0, s14, s0
	s_addc_u32 s1, s15, s1
	s_load_dwordx2 s[12:13], s[0:1], 0x0
	s_waitcnt vmcnt(1)
	v_mov_b32_e32 v8, v7
	v_max_f32_e32 v7, v5, v5
	v_mov_b32_e32 v9, v6
	s_add_i32 s7, s7, -1
	s_waitcnt lgkmcnt(0)
	v_max_f32_e64 v6, s12, s12
	v_max_f32_e32 v6, v7, v6
	v_sub_f32_e32 v10, s12, v6
	v_sub_f32_e32 v7, v5, v6
	v_mul_f32_e32 v11, 0x3fb8aa3b, v10
	v_mov_b32_e32 v5, v6
	v_mul_f32_e32 v6, 0x3fb8aa3b, v7
	v_fma_f32 v14, v10, s8, -v11
	v_rndne_f32_e32 v15, v11
	v_fma_f32 v12, v7, s8, -v6
	v_rndne_f32_e32 v13, v6
	v_fmac_f32_e32 v14, 0x32a5705f, v10
	v_sub_f32_e32 v11, v11, v15
	v_fmac_f32_e32 v12, 0x32a5705f, v7
	v_sub_f32_e32 v6, v6, v13
	v_add_f32_e32 v11, v11, v14
	v_cvt_i32_f32_e32 v15, v15
	v_add_f32_e32 v6, v6, v12
	v_exp_f32_e32 v11, v11
	v_cvt_i32_f32_e32 v13, v13
	v_exp_f32_e32 v6, v6
	v_cmp_ngt_f32_e32 vcc, s9, v10
	v_ldexp_f32 v11, v11, v15
	v_cmp_ngt_f32_e64 s[0:1], s9, v7
	v_ldexp_f32 v6, v6, v13
	v_cndmask_b32_e32 v11, 0, v11, vcc
	v_cmp_nlt_f32_e32 vcc, s10, v10
	v_cndmask_b32_e64 v6, 0, v6, s[0:1]
	v_cmp_nlt_f32_e64 s[0:1], s10, v7
	v_cndmask_b32_e32 v11, v4, v11, vcc
	v_cmp_le_f32_e32 vcc, s11, v10
	v_cndmask_b32_e64 v6, v4, v6, s[0:1]
	v_cmp_le_f32_e64 s[0:1], s11, v7
	v_cndmask_b32_e32 v7, 0, v11, vcc
	s_add_i32 s2, s2, -2
	v_cndmask_b32_e64 v10, 0, v6, s[0:1]
	v_mul_f32_e32 v6, s13, v7
	v_add_u32_e32 v0, 0xfffffe00, v0
	s_cmp_le_i32 s7, s6
	v_fmac_f32_e32 v6, v9, v10
	s_waitcnt vmcnt(0)
	v_mul_f32_e32 v7, v1, v7
	v_fmac_f32_e32 v7, v8, v10
	s_cbranch_scc0 .LBB29_3
	s_branch .LBB29_5
.LBB29_4:
	s_waitcnt lgkmcnt(0)
	v_mov_b32_e32 v6, s9
.LBB29_5:
	s_waitcnt vmcnt(0)
	v_div_scale_f32 v0, s[0:1], v6, v6, v7
	v_rcp_f32_e32 v1, v0
	v_div_scale_f32 v4, vcc, v7, v6, v7
	v_fma_f32 v5, -v0, v1, 1.0
	v_fmac_f32_e32 v1, v5, v1
	v_mul_f32_e32 v5, v4, v1
	v_fma_f32 v8, -v0, v5, v4
	v_fmac_f32_e32 v5, v8, v1
	v_fma_f32 v0, -v0, v5, v4
	v_div_fmas_f32 v0, v0, v1, v5
	v_div_fixup_f32 v0, v0, v6, v7
	global_store_dword v[2:3], v0, off
.LBB29_6:
	s_endpgm
	.section	.rodata,"a",@progbits
	.p2align	6, 0x0
	.amdhsa_kernel _ZL33flash_attn_stream_k_fixup_uniformILi256ELi2ELi1EEvPfPK15HIP_vector_typeIfLj2EEiiiiiiS1_IjLj3EES5_S5_
		.amdhsa_group_segment_fixed_size 0
		.amdhsa_private_segment_fixed_size 0
		.amdhsa_kernarg_size 76
		.amdhsa_user_sgpr_count 2
		.amdhsa_user_sgpr_dispatch_ptr 0
		.amdhsa_user_sgpr_queue_ptr 0
		.amdhsa_user_sgpr_kernarg_segment_ptr 1
		.amdhsa_user_sgpr_dispatch_id 0
		.amdhsa_user_sgpr_kernarg_preload_length 0
		.amdhsa_user_sgpr_kernarg_preload_offset 0
		.amdhsa_user_sgpr_private_segment_size 0
		.amdhsa_uses_dynamic_stack 0
		.amdhsa_enable_private_segment 0
		.amdhsa_system_sgpr_workgroup_id_x 1
		.amdhsa_system_sgpr_workgroup_id_y 1
		.amdhsa_system_sgpr_workgroup_id_z 1
		.amdhsa_system_sgpr_workgroup_info 0
		.amdhsa_system_vgpr_workitem_id 0
		.amdhsa_next_free_vgpr 16
		.amdhsa_next_free_sgpr 24
		.amdhsa_accum_offset 16
		.amdhsa_reserve_vcc 1
		.amdhsa_float_round_mode_32 0
		.amdhsa_float_round_mode_16_64 0
		.amdhsa_float_denorm_mode_32 3
		.amdhsa_float_denorm_mode_16_64 3
		.amdhsa_dx10_clamp 1
		.amdhsa_ieee_mode 1
		.amdhsa_fp16_overflow 0
		.amdhsa_tg_split 0
		.amdhsa_exception_fp_ieee_invalid_op 0
		.amdhsa_exception_fp_denorm_src 0
		.amdhsa_exception_fp_ieee_div_zero 0
		.amdhsa_exception_fp_ieee_overflow 0
		.amdhsa_exception_fp_ieee_underflow 0
		.amdhsa_exception_fp_ieee_inexact 0
		.amdhsa_exception_int_div_zero 0
	.end_amdhsa_kernel
	.section	.text._ZL33flash_attn_stream_k_fixup_uniformILi256ELi2ELi1EEvPfPK15HIP_vector_typeIfLj2EEiiiiiiS1_IjLj3EES5_S5_,"axG",@progbits,_ZL33flash_attn_stream_k_fixup_uniformILi256ELi2ELi1EEvPfPK15HIP_vector_typeIfLj2EEiiiiiiS1_IjLj3EES5_S5_,comdat
.Lfunc_end29:
	.size	_ZL33flash_attn_stream_k_fixup_uniformILi256ELi2ELi1EEvPfPK15HIP_vector_typeIfLj2EEiiiiiiS1_IjLj3EES5_S5_, .Lfunc_end29-_ZL33flash_attn_stream_k_fixup_uniformILi256ELi2ELi1EEvPfPK15HIP_vector_typeIfLj2EEiiiiiiS1_IjLj3EES5_S5_
                                        ; -- End function
	.section	.AMDGPU.csdata,"",@progbits
; Kernel info:
; codeLenInByte = 820
; NumSgprs: 30
; NumVgprs: 16
; NumAgprs: 0
; TotalNumVgprs: 16
; ScratchSize: 0
; MemoryBound: 0
; FloatMode: 240
; IeeeMode: 1
; LDSByteSize: 0 bytes/workgroup (compile time only)
; SGPRBlocks: 3
; VGPRBlocks: 1
; NumSGPRsForWavesPerEU: 30
; NumVGPRsForWavesPerEU: 16
; AccumOffset: 16
; Occupancy: 8
; WaveLimiterHint : 0
; COMPUTE_PGM_RSRC2:SCRATCH_EN: 0
; COMPUTE_PGM_RSRC2:USER_SGPR: 2
; COMPUTE_PGM_RSRC2:TRAP_HANDLER: 0
; COMPUTE_PGM_RSRC2:TGID_X_EN: 1
; COMPUTE_PGM_RSRC2:TGID_Y_EN: 1
; COMPUTE_PGM_RSRC2:TGID_Z_EN: 1
; COMPUTE_PGM_RSRC2:TIDIG_COMP_CNT: 0
; COMPUTE_PGM_RSRC3_GFX90A:ACCUM_OFFSET: 3
; COMPUTE_PGM_RSRC3_GFX90A:TG_SPLIT: 0
	.section	.text._ZL33flash_attn_stream_k_fixup_generalILi256ELi2ELi1EEvPfPK15HIP_vector_typeIfLj2EEiiiiS1_IjLj3EES5_S5_S5_,"axG",@progbits,_ZL33flash_attn_stream_k_fixup_generalILi256ELi2ELi1EEvPfPK15HIP_vector_typeIfLj2EEiiiiS1_IjLj3EES5_S5_S5_,comdat
	.globl	_ZL33flash_attn_stream_k_fixup_generalILi256ELi2ELi1EEvPfPK15HIP_vector_typeIfLj2EEiiiiS1_IjLj3EES5_S5_S5_ ; -- Begin function _ZL33flash_attn_stream_k_fixup_generalILi256ELi2ELi1EEvPfPK15HIP_vector_typeIfLj2EEiiiiS1_IjLj3EES5_S5_S5_
	.p2align	8
	.type	_ZL33flash_attn_stream_k_fixup_generalILi256ELi2ELi1EEvPfPK15HIP_vector_typeIfLj2EEiiiiS1_IjLj3EES5_S5_S5_,@function
_ZL33flash_attn_stream_k_fixup_generalILi256ELi2ELi1EEvPfPK15HIP_vector_typeIfLj2EEiiiiS1_IjLj3EES5_S5_S5_: ; @_ZL33flash_attn_stream_k_fixup_generalILi256ELi2ELi1EEvPfPK15HIP_vector_typeIfLj2EEiiiiS1_IjLj3EES5_S5_S5_
; %bb.0:
	s_load_dwordx4 s[12:15], s[0:1], 0x10
	s_load_dword s5, s[0:1], 0x50
	s_mov_b32 s8, 0
	s_waitcnt lgkmcnt(0)
	s_mul_hi_i32 s9, s15, s2
	s_cmp_lg_u64 s[8:9], 0
	s_mul_i32 s8, s15, s2
	s_cbranch_scc0 .LBB30_21
; %bb.1:
	v_cvt_f32_u32_e32 v1, s5
	v_cvt_f32_ubyte0_e32 v2, 0
	s_sub_u32 s10, 0, s5
	s_subb_u32 s11, 0, 0
	v_fmamk_f32 v1, v2, 0x4f800000, v1
	v_rcp_f32_e32 v1, v1
	s_nop 0
	v_mul_f32_e32 v1, 0x5f7ffffc, v1
	v_mul_f32_e32 v2, 0x2f800000, v1
	v_trunc_f32_e32 v2, v2
	v_fmamk_f32 v1, v2, 0xcf800000, v1
	v_cvt_u32_f32_e32 v2, v2
	v_cvt_u32_f32_e32 v1, v1
	v_readfirstlane_b32 s16, v2
	v_readfirstlane_b32 s17, v1
	s_mul_i32 s18, s10, s16
	s_mul_hi_u32 s20, s10, s17
	s_mul_i32 s19, s11, s17
	s_add_i32 s18, s20, s18
	s_add_i32 s18, s18, s19
	s_mul_i32 s21, s10, s17
	s_mul_hi_u32 s19, s17, s18
	s_mul_i32 s20, s17, s18
	s_mul_hi_u32 s17, s17, s21
	s_add_u32 s17, s17, s20
	s_addc_u32 s19, 0, s19
	s_mul_hi_u32 s22, s16, s21
	s_mul_i32 s21, s16, s21
	s_add_u32 s17, s17, s21
	s_mul_hi_u32 s20, s16, s18
	s_addc_u32 s17, s19, s22
	s_addc_u32 s19, s20, 0
	s_mul_i32 s18, s16, s18
	s_add_u32 s17, s17, s18
	s_addc_u32 s18, 0, s19
	v_add_co_u32_e32 v1, vcc, s17, v1
	s_cmp_lg_u64 vcc, 0
	s_addc_u32 s16, s16, s18
	v_readfirstlane_b32 s18, v1
	s_mul_i32 s17, s10, s16
	s_mul_hi_u32 s19, s10, s18
	s_add_i32 s17, s19, s17
	s_mul_i32 s11, s11, s18
	s_add_i32 s17, s17, s11
	s_mul_i32 s10, s10, s18
	s_mul_hi_u32 s19, s16, s10
	s_mul_i32 s20, s16, s10
	s_mul_i32 s22, s18, s17
	s_mul_hi_u32 s10, s18, s10
	s_mul_hi_u32 s21, s18, s17
	s_add_u32 s10, s10, s22
	s_addc_u32 s18, 0, s21
	s_add_u32 s10, s10, s20
	s_mul_hi_u32 s11, s16, s17
	s_addc_u32 s10, s18, s19
	s_addc_u32 s11, s11, 0
	s_mul_i32 s17, s16, s17
	s_add_u32 s10, s10, s17
	s_addc_u32 s11, 0, s11
	v_add_co_u32_e32 v1, vcc, s10, v1
	s_cmp_lg_u64 vcc, 0
	s_addc_u32 s18, s16, s11
	s_ashr_i32 s10, s9, 31
	s_add_u32 s16, s8, s10
	s_mov_b32 s11, s10
	s_addc_u32 s17, s9, s10
	s_xor_b64 s[16:17], s[16:17], s[10:11]
	v_readfirstlane_b32 s20, v1
	s_mul_i32 s19, s16, s18
	s_mul_hi_u32 s21, s16, s20
	s_mul_hi_u32 s9, s16, s18
	s_add_u32 s19, s21, s19
	s_addc_u32 s9, 0, s9
	s_mul_hi_u32 s22, s17, s20
	s_mul_i32 s20, s17, s20
	s_add_u32 s19, s19, s20
	s_mul_hi_u32 s21, s17, s18
	s_addc_u32 s9, s9, s22
	s_addc_u32 s19, s21, 0
	s_mul_i32 s18, s17, s18
	s_add_u32 s9, s9, s18
	s_addc_u32 s18, 0, s19
	s_add_u32 s19, s9, 1
	s_addc_u32 s20, s18, 0
	s_add_u32 s21, s9, 2
	s_mul_i32 s23, s5, s18
	s_mul_hi_u32 s24, s5, s9
	s_addc_u32 s22, s18, 0
	s_add_i32 s24, s24, s23
	s_mul_i32 s23, s5, s9
	v_mov_b32_e32 v1, s23
	v_sub_co_u32_e32 v1, vcc, s16, v1
	s_cmp_lg_u64 vcc, 0
	s_subb_u32 s16, s17, s24
	v_subrev_co_u32_e32 v2, vcc, s5, v1
	s_cmp_lg_u64 vcc, 0
	s_subb_u32 s17, s16, 0
	v_readfirstlane_b32 s23, v2
	s_cmp_ge_u32 s23, s5
	s_cselect_b32 s23, -1, 0
	s_cmp_eq_u32 s17, 0
	s_cselect_b32 s17, s23, -1
	s_cmp_lg_u32 s17, 0
	s_cselect_b32 s17, s22, s20
	v_readfirstlane_b32 s20, v1
	s_cselect_b32 s19, s21, s19
	s_cmp_ge_u32 s20, s5
	s_cselect_b32 s20, -1, 0
	s_cmp_eq_u32 s16, 0
	s_cselect_b32 s16, s20, -1
	s_cmp_lg_u32 s16, 0
	s_cselect_b32 s17, s17, s18
	s_cselect_b32 s16, s19, s9
	s_xor_b64 s[16:17], s[16:17], s[10:11]
	s_sub_u32 s20, s16, s10
	s_load_dwordx4 s[16:19], s[0:1], 0x44
	s_cbranch_execnz .LBB30_3
.LBB30_2:
	v_cvt_f32_u32_e32 v1, s5
	s_sub_i32 s6, 0, s5
	v_rcp_iflag_f32_e32 v1, v1
	s_nop 0
	v_mul_f32_e32 v1, 0x4f7ffffe, v1
	v_cvt_u32_f32_e32 v1, v1
	s_nop 0
	v_readfirstlane_b32 s7, v1
	s_mul_i32 s6, s6, s7
	s_mul_hi_u32 s6, s7, s6
	s_add_i32 s7, s7, s6
	s_mul_hi_u32 s6, s8, s7
	s_mul_i32 s9, s6, s5
	s_sub_i32 s8, s8, s9
	s_add_i32 s7, s6, 1
	s_sub_i32 s9, s8, s5
	s_cmp_ge_u32 s8, s5
	s_cselect_b32 s6, s7, s6
	s_cselect_b32 s8, s9, s8
	s_add_i32 s7, s6, 1
	s_cmp_ge_u32 s8, s5
	s_cselect_b32 s20, s7, s6
.LBB30_3:
	s_add_i32 s6, s2, 1
	s_mul_hi_i32 s9, s15, s6
	s_mov_b32 s8, 0
	s_cmp_lg_u64 s[8:9], 0
	s_mul_i32 s8, s15, s6
	s_cbranch_scc0 .LBB30_22
; %bb.4:
	v_cvt_f32_u32_e32 v1, s5
	v_cvt_f32_ubyte0_e32 v2, 0
	s_sub_u32 s10, 0, s5
	s_subb_u32 s11, 0, 0
	v_fmamk_f32 v1, v2, 0x4f800000, v1
	v_rcp_f32_e32 v1, v1
	s_nop 0
	v_mul_f32_e32 v1, 0x5f7ffffc, v1
	v_mul_f32_e32 v2, 0x2f800000, v1
	v_trunc_f32_e32 v2, v2
	v_fmamk_f32 v1, v2, 0xcf800000, v1
	v_cvt_u32_f32_e32 v2, v2
	v_cvt_u32_f32_e32 v1, v1
	s_waitcnt lgkmcnt(0)
	v_readfirstlane_b32 s19, v2
	v_readfirstlane_b32 s21, v1
	s_mul_i32 s22, s10, s19
	s_mul_hi_u32 s24, s10, s21
	s_mul_i32 s23, s11, s21
	s_add_i32 s22, s24, s22
	s_add_i32 s22, s22, s23
	s_mul_i32 s25, s10, s21
	s_mul_hi_u32 s23, s21, s22
	s_mul_i32 s24, s21, s22
	s_mul_hi_u32 s21, s21, s25
	s_add_u32 s21, s21, s24
	s_addc_u32 s23, 0, s23
	s_mul_hi_u32 s26, s19, s25
	s_mul_i32 s25, s19, s25
	s_add_u32 s21, s21, s25
	s_mul_hi_u32 s24, s19, s22
	s_addc_u32 s21, s23, s26
	s_addc_u32 s23, s24, 0
	s_mul_i32 s22, s19, s22
	s_add_u32 s21, s21, s22
	s_addc_u32 s22, 0, s23
	v_add_co_u32_e32 v1, vcc, s21, v1
	s_cmp_lg_u64 vcc, 0
	s_addc_u32 s19, s19, s22
	v_readfirstlane_b32 s22, v1
	s_mul_i32 s21, s10, s19
	s_mul_hi_u32 s23, s10, s22
	s_add_i32 s21, s23, s21
	s_mul_i32 s11, s11, s22
	s_add_i32 s21, s21, s11
	s_mul_i32 s10, s10, s22
	s_mul_hi_u32 s23, s19, s10
	s_mul_i32 s24, s19, s10
	s_mul_i32 s26, s22, s21
	s_mul_hi_u32 s10, s22, s10
	s_mul_hi_u32 s25, s22, s21
	s_add_u32 s10, s10, s26
	s_addc_u32 s22, 0, s25
	s_add_u32 s10, s10, s24
	s_mul_hi_u32 s11, s19, s21
	s_addc_u32 s10, s22, s23
	s_addc_u32 s11, s11, 0
	s_mul_i32 s21, s19, s21
	s_add_u32 s10, s10, s21
	s_addc_u32 s11, 0, s11
	v_add_co_u32_e32 v1, vcc, s10, v1
	s_cmp_lg_u64 vcc, 0
	s_addc_u32 s19, s19, s11
	s_ashr_i32 s10, s9, 31
	s_add_u32 s22, s8, s10
	s_mov_b32 s11, s10
	s_addc_u32 s23, s9, s10
	s_xor_b64 s[22:23], s[22:23], s[10:11]
	v_readfirstlane_b32 s21, v1
	s_mul_i32 s11, s22, s19
	s_mul_hi_u32 s24, s22, s21
	s_mul_hi_u32 s9, s22, s19
	s_add_u32 s11, s24, s11
	s_addc_u32 s9, 0, s9
	s_mul_hi_u32 s25, s23, s21
	s_mul_i32 s21, s23, s21
	s_add_u32 s11, s11, s21
	s_mul_hi_u32 s24, s23, s19
	s_addc_u32 s9, s9, s25
	s_addc_u32 s11, s24, 0
	s_mul_i32 s19, s23, s19
	s_add_u32 s9, s9, s19
	s_addc_u32 s11, 0, s11
	s_mul_i32 s11, s5, s11
	s_mul_hi_u32 s24, s5, s9
	s_add_i32 s24, s24, s11
	s_mul_i32 s11, s5, s9
	v_mov_b32_e32 v1, s11
	s_add_u32 s19, s9, 1
	s_add_u32 s21, s9, 2
	v_sub_co_u32_e32 v1, vcc, s22, v1
	s_cmp_lg_u64 vcc, 0
	s_subb_u32 s11, s23, s24
	v_subrev_co_u32_e32 v2, vcc, s5, v1
	s_cmp_lg_u64 vcc, 0
	s_subb_u32 s22, s11, 0
	v_cmp_le_u32_e32 vcc, s5, v2
	s_cmp_eq_u32 s22, 0
	v_mov_b32_e32 v3, s19
	v_cndmask_b32_e64 v2, 0, -1, vcc
	s_cselect_b64 vcc, -1, 0
	v_cndmask_b32_e32 v2, -1, v2, vcc
	v_mov_b32_e32 v4, s21
	v_cmp_ne_u32_e32 vcc, 0, v2
	s_cmp_eq_u32 s11, 0
	s_nop 0
	v_cndmask_b32_e32 v2, v3, v4, vcc
	v_cmp_le_u32_e32 vcc, s5, v1
	v_mov_b32_e32 v3, s9
	s_nop 0
	v_cndmask_b32_e64 v1, 0, -1, vcc
	s_cselect_b64 vcc, -1, 0
	v_cndmask_b32_e32 v1, -1, v1, vcc
	v_cmp_ne_u32_e32 vcc, 0, v1
	s_nop 1
	v_cndmask_b32_e32 v1, v3, v2, vcc
	v_xor_b32_e32 v1, s10, v1
	v_subrev_co_u32_e32 v2, vcc, s10, v1
	s_cbranch_execnz .LBB30_6
.LBB30_5:
	v_cvt_f32_u32_e32 v1, s5
	s_sub_i32 s6, 0, s5
	s_mov_b32 s7, 0
	v_rcp_iflag_f32_e32 v1, v1
	s_nop 0
	v_mul_f32_e32 v1, 0x4f7ffffe, v1
	v_cvt_u32_f32_e32 v1, v1
	s_nop 0
	v_readfirstlane_b32 s9, v1
	s_mul_i32 s6, s6, s9
	s_mul_hi_u32 s6, s9, s6
	s_add_i32 s9, s9, s6
	s_mul_hi_u32 s6, s8, s9
	s_mul_i32 s10, s6, s5
	s_sub_i32 s8, s8, s10
	s_add_i32 s9, s6, 1
	s_sub_i32 s10, s8, s5
	s_cmp_ge_u32 s8, s5
	s_cselect_b32 s6, s9, s6
	s_cselect_b32 s8, s10, s8
	s_add_i32 s9, s6, 1
	s_cmp_ge_u32 s8, s5
	s_cselect_b32 s6, s9, s6
	v_mov_b64_e32 v[2:3], s[6:7]
.LBB30_6:
	s_waitcnt lgkmcnt(0)
	s_mul_hi_u32 s6, s20, s16
	s_add_i32 s6, s6, s20
	v_mul_hi_u32 v1, v2, s16
	s_lshr_b32 s19, s6, s17
	v_add_u32_e32 v1, v1, v2
	s_mul_i32 s6, s19, s18
	v_lshrrev_b32_e32 v1, s17, v1
	s_cmp_eq_u32 s6, s20
	v_cmp_eq_u32_e64 s[6:7], s19, v1
	v_mul_lo_u32 v1, v1, s18
	v_cmp_eq_u32_e32 vcc, s20, v2
	s_cselect_b64 s[10:11], -1, 0
	v_cmp_ne_u32_e64 s[8:9], v1, v2
	s_and_b64 s[6:7], s[6:7], s[8:9]
	s_or_b64 s[8:9], vcc, s[10:11]
	s_or_b64 s[6:7], s[8:9], s[6:7]
	s_and_b64 vcc, exec, s[6:7]
	s_cbranch_vccnz .LBB30_24
; %bb.7:
	s_load_dwordx8 s[24:31], s[0:1], 0x20
	s_load_dword s6, s[0:1], 0x40
	s_waitcnt lgkmcnt(0)
	s_mul_hi_u32 s7, s20, s24
	s_add_i32 s7, s7, s20
	s_lshr_b32 s7, s7, s25
	s_mul_i32 s8, s7, s26
	s_sub_i32 s8, s20, s8
	s_mul_hi_u32 s9, s8, s27
	s_add_i32 s9, s8, s9
	s_lshr_b32 s23, s9, s28
	s_mul_i32 s9, s23, s29
	s_sub_i32 s8, s8, s9
	;; [unrolled: 5-line block ×3, first 2 shown]
	s_mul_hi_u32 s8, s6, s16
	s_add_i32 s6, s6, s8
	s_lshr_b32 s24, s6, s17
	s_lshl_b32 s6, s24, 1
	s_add_i32 s6, s6, s3
	s_cmp_lt_i32 s6, s12
	s_cselect_b64 s[8:9], -1, 0
	s_add_i32 s6, s22, s4
	s_cmp_lt_i32 s6, s14
	s_cselect_b64 s[10:11], -1, 0
	s_and_b64 s[8:9], s[8:9], s[10:11]
	s_andn2_b64 vcc, exec, s[8:9]
	s_mov_b32 s6, 0
	s_cbranch_vccnz .LBB30_24
; %bb.8:
	s_load_dwordx4 s[8:11], s[0:1], 0x0
	s_lshl_b32 s0, s5, 3
	s_mov_b32 s1, s6
	s_add_i32 s21, s3, s4
	s_lshl_b64 s[0:1], s[0:1], 2
	s_waitcnt lgkmcnt(0)
	v_mov_b32_e32 v2, s8
	s_add_u32 s8, s10, s0
	s_mul_i32 s0, s7, s12
	v_mov_b32_e32 v3, s9
	s_addc_u32 s9, s11, s1
	s_add_i32 s0, s0, s3
	s_mul_i32 s0, s0, s13
	s_mul_i32 s23, s23, s14
	s_add_i32 s0, s0, s4
	s_add_i32 s0, s0, s23
	s_mul_i32 s1, s13, s24
	s_add_i32 s0, s0, s22
	s_lshl_b32 s1, s1, 9
	s_lshl_b32 s0, s0, 8
	s_add_i32 s1, s1, s0
	v_or_b32_e32 v4, s1, v0
	v_ashrrev_i32_e32 v5, 31, v4
	v_lshl_add_u64 v[2:3], v[4:5], 2, v[2:3]
	global_load_dword v5, v[2:3], off
	v_lshl_or_b32 v4, s21, 8, v0
	v_cvt_f32_u32_e32 v0, s5
	v_cvt_f32_ubyte0_e32 v1, 0
	s_lshl_b32 s0, s2, 1
	s_add_i32 s0, s0, s21
	v_fmac_f32_e32 v0, 0x4f800000, v1
	v_rcp_f32_e32 v0, v0
	v_cvt_f32_u32_e32 v1, s5
	s_ashr_i32 s1, s0, 31
	s_lshl_b64 s[0:1], s[0:1], 3
	v_mul_f32_e32 v0, 0x5f7ffffc, v0
	v_rcp_iflag_f32_e32 v1, v1
	s_add_u32 s0, s10, s0
	v_mul_f32_e32 v9, 0x2f800000, v0
	s_addc_u32 s1, s11, s1
	v_trunc_f32_e32 v10, v9
	s_load_dwordx2 s[0:1], s[0:1], 0x0
	v_fmac_f32_e32 v0, 0xcf800000, v10
	v_cvt_u32_f32_e32 v9, v0
	v_mul_f32_e32 v0, 0x4f7ffffe, v1
	v_cvt_u32_f32_e32 v10, v10
	v_cvt_u32_f32_e32 v11, v0
	s_add_i32 s13, s2, -1
	s_waitcnt lgkmcnt(0)
	v_mov_b32_e32 v6, s1
	v_mov_b32_e32 v7, s0
	;; [unrolled: 1-line block ×3, first 2 shown]
	s_mov_b32 s4, 0x3fb8aa3b
	s_mov_b32 s12, 0xc2ce8ed0
	;; [unrolled: 1-line block ×4, first 2 shown]
	v_mov_b32_e32 v12, 0x7f800000
	s_mul_hi_i32 s7, s13, s15
	s_cmp_lg_u64 s[6:7], 0
	s_mul_i32 s2, s13, s15
	s_cbranch_scc0 .LBB30_15
.LBB30_9:
	s_sub_u32 s0, 0, s5
	v_readfirstlane_b32 s3, v9
	v_readfirstlane_b32 s24, v10
	s_subb_u32 s1, 0, 0
	s_mul_hi_u32 s23, s0, s3
	s_mul_i32 s25, s0, s24
	s_mul_i32 s22, s1, s3
	s_add_i32 s23, s23, s25
	s_add_i32 s23, s23, s22
	s_mul_i32 s26, s0, s3
	s_mul_hi_u32 s22, s3, s23
	s_mul_i32 s25, s3, s23
	s_mul_hi_u32 s3, s3, s26
	s_add_u32 s3, s3, s25
	s_addc_u32 s22, 0, s22
	s_mul_hi_u32 s27, s24, s26
	s_mul_i32 s26, s24, s26
	s_add_u32 s3, s3, s26
	s_mul_hi_u32 s25, s24, s23
	s_addc_u32 s3, s22, s27
	s_addc_u32 s22, s25, 0
	s_mul_i32 s23, s24, s23
	s_add_u32 s3, s3, s23
	s_addc_u32 s22, 0, s22
	v_add_co_u32_e32 v0, vcc, s3, v9
	s_cmp_lg_u64 vcc, 0
	s_addc_u32 s3, s24, s22
	v_readfirstlane_b32 s23, v0
	s_mul_i32 s22, s0, s3
	s_mul_hi_u32 s24, s0, s23
	s_add_i32 s22, s24, s22
	s_mul_i32 s1, s1, s23
	s_add_i32 s22, s22, s1
	s_mul_i32 s0, s0, s23
	s_mul_hi_u32 s24, s3, s0
	s_mul_i32 s25, s3, s0
	s_mul_i32 s27, s23, s22
	s_mul_hi_u32 s0, s23, s0
	s_mul_hi_u32 s26, s23, s22
	s_add_u32 s0, s0, s27
	s_addc_u32 s23, 0, s26
	s_add_u32 s0, s0, s25
	s_mul_hi_u32 s1, s3, s22
	s_addc_u32 s0, s23, s24
	s_addc_u32 s1, s1, 0
	s_mul_i32 s22, s3, s22
	s_add_u32 s0, s0, s22
	s_addc_u32 s1, 0, s1
	v_add_co_u32_e32 v0, vcc, s0, v0
	s_cmp_lg_u64 vcc, 0
	s_addc_u32 s3, s3, s1
	s_ashr_i32 s0, s7, 31
	s_add_u32 s22, s2, s0
	s_mov_b32 s1, s0
	s_addc_u32 s23, s7, s0
	s_xor_b64 s[22:23], s[22:23], s[0:1]
	v_readfirstlane_b32 s24, v0
	s_mul_i32 s7, s22, s3
	s_mul_hi_u32 s25, s22, s24
	s_mul_hi_u32 s1, s22, s3
	s_add_u32 s7, s25, s7
	s_addc_u32 s1, 0, s1
	s_mul_hi_u32 s26, s23, s24
	s_mul_i32 s24, s23, s24
	s_add_u32 s7, s7, s24
	s_mul_hi_u32 s25, s23, s3
	s_addc_u32 s1, s1, s26
	s_addc_u32 s7, s25, 0
	s_mul_i32 s3, s23, s3
	s_add_u32 s1, s1, s3
	s_addc_u32 s3, 0, s7
	s_mul_i32 s3, s5, s3
	s_mul_hi_u32 s25, s5, s1
	s_add_i32 s25, s25, s3
	s_mul_i32 s3, s5, s1
	v_mov_b32_e32 v0, s3
	s_add_u32 s7, s1, 1
	s_add_u32 s24, s1, 2
	v_sub_co_u32_e32 v0, vcc, s22, v0
	s_cmp_lg_u64 vcc, 0
	s_subb_u32 s3, s23, s25
	v_subrev_co_u32_e32 v1, vcc, s5, v0
	s_cmp_lg_u64 vcc, 0
	s_subb_u32 s22, s3, 0
	v_cmp_le_u32_e32 vcc, s5, v1
	s_cmp_eq_u32 s22, 0
	v_mov_b32_e32 v13, s7
	v_cndmask_b32_e64 v1, 0, -1, vcc
	s_cselect_b64 vcc, -1, 0
	v_cndmask_b32_e32 v1, -1, v1, vcc
	v_mov_b32_e32 v14, s24
	v_cmp_ne_u32_e32 vcc, 0, v1
	s_cmp_eq_u32 s3, 0
	s_nop 0
	v_cndmask_b32_e32 v1, v13, v14, vcc
	v_cmp_le_u32_e32 vcc, s5, v0
	v_mov_b32_e32 v13, s1
	s_nop 0
	v_cndmask_b32_e64 v0, 0, -1, vcc
	s_cselect_b64 vcc, -1, 0
	v_cndmask_b32_e32 v0, -1, v0, vcc
	v_cmp_ne_u32_e32 vcc, 0, v0
	s_nop 1
	v_cndmask_b32_e32 v0, v13, v1, vcc
	v_xor_b32_e32 v0, s0, v0
	v_subrev_co_u32_e32 v0, vcc, s0, v0
	s_cbranch_execnz .LBB30_11
.LBB30_10:
	s_sub_i32 s0, 0, s5
	v_mul_lo_u32 v0, s0, v11
	v_mul_hi_u32 v0, v11, v0
	v_add_u32_e32 v0, v11, v0
	v_mul_hi_u32 v0, s2, v0
	v_mul_lo_u32 v13, v0, s5
	v_sub_u32_e32 v13, s2, v13
	v_add_u32_e32 v1, 1, v0
	v_subrev_u32_e32 v14, s5, v13
	v_cmp_le_u32_e32 vcc, s5, v13
	s_nop 1
	v_cndmask_b32_e32 v13, v13, v14, vcc
	v_cndmask_b32_e32 v0, v0, v1, vcc
	v_add_u32_e32 v1, 1, v0
	v_cmp_le_u32_e32 vcc, s5, v13
	s_nop 1
	v_cndmask_b32_e32 v0, v0, v1, vcc
.LBB30_11:
	v_cmp_ne_u32_e32 vcc, v8, v0
	s_cbranch_vccz .LBB30_14
; %bb.12:
	s_add_i32 s0, s13, s5
	s_lshl_b32 s0, s0, 1
	v_mul_hi_u32 v1, v0, s16
	s_add_i32 s0, s0, s21
	s_mov_b32 s1, s6
	v_add_u32_e32 v1, v1, v0
	s_lshl_b64 s[0:1], s[0:1], 3
	v_lshrrev_b32_e32 v1, s17, v1
	s_add_u32 s2, s10, s0
	v_mul_lo_u32 v13, v1, s18
	s_addc_u32 s3, s11, s1
	v_cmp_eq_u32_e32 vcc, v13, v0
	v_cmp_gt_u32_e64 s[0:1], s19, v1
	s_or_b64 s[0:1], s[0:1], vcc
	s_and_b64 vcc, exec, s[0:1]
	s_cbranch_vccnz .LBB30_16
; %bb.13:
	s_add_i32 s7, s13, -1
	s_mov_b64 s[0:1], 0
	s_branch .LBB30_17
.LBB30_14:
                                        ; implicit-def: $sgpr0_sgpr1
                                        ; implicit-def: $vgpr14
                                        ; implicit-def: $vgpr1
                                        ; implicit-def: $vgpr13
                                        ; implicit-def: $sgpr7
                                        ; implicit-def: $vgpr0
	s_branch .LBB30_18
.LBB30_15:
                                        ; implicit-def: $vgpr0_vgpr1
	s_branch .LBB30_10
.LBB30_16:
	s_mov_b64 s[0:1], -1
	s_mov_b32 s7, s13
	v_mov_b32_e32 v0, v8
.LBB30_17:
	v_lshl_add_u32 v14, s13, 9, v4
	v_ashrrev_i32_e32 v15, 31, v14
	v_lshl_add_u64 v[14:15], v[14:15], 2, s[8:9]
	global_load_dword v14, v[14:15], off
	s_load_dwordx2 s[2:3], s[2:3], 0x0
	v_max_f32_e32 v1, v7, v7
	s_waitcnt lgkmcnt(0)
	v_max_f32_e64 v13, s2, s2
	v_max_f32_e32 v1, v1, v13
	v_sub_f32_e32 v13, v7, v1
	v_sub_f32_e32 v15, s2, v1
	v_mul_f32_e32 v16, 0x3fb8aa3b, v13
	v_mul_f32_e32 v17, 0x3fb8aa3b, v15
	v_fma_f32 v18, v13, s4, -v16
	v_rndne_f32_e32 v19, v16
	v_fma_f32 v20, v15, s4, -v17
	v_rndne_f32_e32 v21, v17
	v_fmac_f32_e32 v18, 0x32a5705f, v13
	v_sub_f32_e32 v16, v16, v19
	v_fmac_f32_e32 v20, 0x32a5705f, v15
	v_sub_f32_e32 v17, v17, v21
	v_add_f32_e32 v16, v16, v18
	v_cvt_i32_f32_e32 v19, v19
	v_add_f32_e32 v17, v17, v20
	v_exp_f32_e32 v16, v16
	v_cvt_i32_f32_e32 v21, v21
	v_exp_f32_e32 v17, v17
	v_cmp_ngt_f32_e32 vcc, s12, v13
	v_ldexp_f32 v16, v16, v19
	v_ldexp_f32 v17, v17, v21
	v_cndmask_b32_e32 v16, 0, v16, vcc
	v_cmp_ngt_f32_e32 vcc, s12, v15
	s_nop 1
	v_cndmask_b32_e32 v17, 0, v17, vcc
	v_cmp_nlt_f32_e32 vcc, s14, v13
	s_nop 1
	v_cndmask_b32_e32 v16, v12, v16, vcc
	v_cmp_nlt_f32_e32 vcc, s14, v15
	s_nop 1
	v_cndmask_b32_e32 v17, v12, v17, vcc
	v_cmp_le_f32_e32 vcc, s20, v13
	s_nop 1
	v_cndmask_b32_e32 v16, 0, v16, vcc
	v_cmp_le_f32_e32 vcc, s20, v15
	s_nop 1
	v_cndmask_b32_e32 v15, 0, v17, vcc
	v_mul_f32_e32 v13, s3, v15
	v_fmac_f32_e32 v13, v6, v16
	s_waitcnt vmcnt(0)
	v_mul_f32_e32 v14, v14, v15
	v_fmac_f32_e32 v14, v5, v16
	s_cbranch_execnz .LBB30_19
.LBB30_18:
	s_add_i32 s7, s13, -1
	s_mov_b64 s[0:1], 0
	v_mov_b32_e32 v0, v8
	v_mov_b32_e32 v13, v6
	;; [unrolled: 1-line block ×3, first 2 shown]
	s_waitcnt vmcnt(0)
	v_mov_b32_e32 v14, v5
.LBB30_19:
	s_andn2_b64 vcc, exec, s[0:1]
	s_cbranch_vccz .LBB30_23
; %bb.20:
	v_mov_b32_e32 v8, v0
	s_mov_b32 s13, s7
	v_mov_b32_e32 v6, v13
	v_mov_b32_e32 v7, v1
	s_waitcnt vmcnt(0)
	v_mov_b32_e32 v5, v14
	s_mul_hi_i32 s7, s13, s15
	s_cmp_lg_u64 s[6:7], 0
	s_mul_i32 s2, s13, s15
	s_cbranch_scc1 .LBB30_9
	s_branch .LBB30_15
.LBB30_21:
                                        ; implicit-def: $sgpr20_sgpr21
	s_load_dwordx4 s[16:19], s[0:1], 0x44
	s_branch .LBB30_2
.LBB30_22:
                                        ; implicit-def: $vgpr2_vgpr3
	s_branch .LBB30_5
.LBB30_23:
	v_div_scale_f32 v0, s[0:1], v13, v13, v14
	v_rcp_f32_e32 v1, v0
	v_div_scale_f32 v4, vcc, v14, v13, v14
	s_waitcnt vmcnt(0)
	v_fma_f32 v5, -v0, v1, 1.0
	v_fmac_f32_e32 v1, v5, v1
	v_mul_f32_e32 v5, v4, v1
	v_fma_f32 v6, -v0, v5, v4
	v_fmac_f32_e32 v5, v6, v1
	v_fma_f32 v0, -v0, v5, v4
	v_div_fmas_f32 v0, v0, v1, v5
	v_div_fixup_f32 v0, v0, v13, v14
	global_store_dword v[2:3], v0, off
.LBB30_24:
	s_endpgm
	.section	.rodata,"a",@progbits
	.p2align	6, 0x0
	.amdhsa_kernel _ZL33flash_attn_stream_k_fixup_generalILi256ELi2ELi1EEvPfPK15HIP_vector_typeIfLj2EEiiiiS1_IjLj3EES5_S5_S5_
		.amdhsa_group_segment_fixed_size 0
		.amdhsa_private_segment_fixed_size 0
		.amdhsa_kernarg_size 336
		.amdhsa_user_sgpr_count 2
		.amdhsa_user_sgpr_dispatch_ptr 0
		.amdhsa_user_sgpr_queue_ptr 0
		.amdhsa_user_sgpr_kernarg_segment_ptr 1
		.amdhsa_user_sgpr_dispatch_id 0
		.amdhsa_user_sgpr_kernarg_preload_length 0
		.amdhsa_user_sgpr_kernarg_preload_offset 0
		.amdhsa_user_sgpr_private_segment_size 0
		.amdhsa_uses_dynamic_stack 0
		.amdhsa_enable_private_segment 0
		.amdhsa_system_sgpr_workgroup_id_x 1
		.amdhsa_system_sgpr_workgroup_id_y 1
		.amdhsa_system_sgpr_workgroup_id_z 1
		.amdhsa_system_sgpr_workgroup_info 0
		.amdhsa_system_vgpr_workitem_id 0
		.amdhsa_next_free_vgpr 22
		.amdhsa_next_free_sgpr 32
		.amdhsa_accum_offset 24
		.amdhsa_reserve_vcc 1
		.amdhsa_float_round_mode_32 0
		.amdhsa_float_round_mode_16_64 0
		.amdhsa_float_denorm_mode_32 3
		.amdhsa_float_denorm_mode_16_64 3
		.amdhsa_dx10_clamp 1
		.amdhsa_ieee_mode 1
		.amdhsa_fp16_overflow 0
		.amdhsa_tg_split 0
		.amdhsa_exception_fp_ieee_invalid_op 0
		.amdhsa_exception_fp_denorm_src 0
		.amdhsa_exception_fp_ieee_div_zero 0
		.amdhsa_exception_fp_ieee_overflow 0
		.amdhsa_exception_fp_ieee_underflow 0
		.amdhsa_exception_fp_ieee_inexact 0
		.amdhsa_exception_int_div_zero 0
	.end_amdhsa_kernel
	.section	.text._ZL33flash_attn_stream_k_fixup_generalILi256ELi2ELi1EEvPfPK15HIP_vector_typeIfLj2EEiiiiS1_IjLj3EES5_S5_S5_,"axG",@progbits,_ZL33flash_attn_stream_k_fixup_generalILi256ELi2ELi1EEvPfPK15HIP_vector_typeIfLj2EEiiiiS1_IjLj3EES5_S5_S5_,comdat
.Lfunc_end30:
	.size	_ZL33flash_attn_stream_k_fixup_generalILi256ELi2ELi1EEvPfPK15HIP_vector_typeIfLj2EEiiiiS1_IjLj3EES5_S5_S5_, .Lfunc_end30-_ZL33flash_attn_stream_k_fixup_generalILi256ELi2ELi1EEvPfPK15HIP_vector_typeIfLj2EEiiiiS1_IjLj3EES5_S5_S5_
                                        ; -- End function
	.section	.AMDGPU.csdata,"",@progbits
; Kernel info:
; codeLenInByte = 2856
; NumSgprs: 38
; NumVgprs: 22
; NumAgprs: 0
; TotalNumVgprs: 22
; ScratchSize: 0
; MemoryBound: 0
; FloatMode: 240
; IeeeMode: 1
; LDSByteSize: 0 bytes/workgroup (compile time only)
; SGPRBlocks: 4
; VGPRBlocks: 2
; NumSGPRsForWavesPerEU: 38
; NumVGPRsForWavesPerEU: 22
; AccumOffset: 24
; Occupancy: 8
; WaveLimiterHint : 0
; COMPUTE_PGM_RSRC2:SCRATCH_EN: 0
; COMPUTE_PGM_RSRC2:USER_SGPR: 2
; COMPUTE_PGM_RSRC2:TRAP_HANDLER: 0
; COMPUTE_PGM_RSRC2:TGID_X_EN: 1
; COMPUTE_PGM_RSRC2:TGID_Y_EN: 1
; COMPUTE_PGM_RSRC2:TGID_Z_EN: 1
; COMPUTE_PGM_RSRC2:TIDIG_COMP_CNT: 0
; COMPUTE_PGM_RSRC3_GFX90A:ACCUM_OFFSET: 5
; COMPUTE_PGM_RSRC3_GFX90A:TG_SPLIT: 0
	.section	.text._ZL18flash_attn_ext_vecILi256ELi2EL9ggml_type2ELS0_30ELb1EEvPKcS2_S2_S2_S2_PKiPfP15HIP_vector_typeIfLj2EEffffjfiS6_IjLj3EEiiiiiiiiiiiliiliiiiil,"axG",@progbits,_ZL18flash_attn_ext_vecILi256ELi2EL9ggml_type2ELS0_30ELb1EEvPKcS2_S2_S2_S2_PKiPfP15HIP_vector_typeIfLj2EEffffjfiS6_IjLj3EEiiiiiiiiiiiliiliiiiil,comdat
	.globl	_ZL18flash_attn_ext_vecILi256ELi2EL9ggml_type2ELS0_30ELb1EEvPKcS2_S2_S2_S2_PKiPfP15HIP_vector_typeIfLj2EEffffjfiS6_IjLj3EEiiiiiiiiiiiliiliiiiil ; -- Begin function _ZL18flash_attn_ext_vecILi256ELi2EL9ggml_type2ELS0_30ELb1EEvPKcS2_S2_S2_S2_PKiPfP15HIP_vector_typeIfLj2EEffffjfiS6_IjLj3EEiiiiiiiiiiiliiliiiiil
	.p2align	8
	.type	_ZL18flash_attn_ext_vecILi256ELi2EL9ggml_type2ELS0_30ELb1EEvPKcS2_S2_S2_S2_PKiPfP15HIP_vector_typeIfLj2EEffffjfiS6_IjLj3EEiiiiiiiiiiiliiliiiiil,@function
_ZL18flash_attn_ext_vecILi256ELi2EL9ggml_type2ELS0_30ELb1EEvPKcS2_S2_S2_S2_PKiPfP15HIP_vector_typeIfLj2EEffffjfiS6_IjLj3EEiiiiiiiiiiiliiliiiiil: ; @_ZL18flash_attn_ext_vecILi256ELi2EL9ggml_type2ELS0_30ELb1EEvPKcS2_S2_S2_S2_PKiPfP15HIP_vector_typeIfLj2EEffffjfiS6_IjLj3EEiiiiiiiiiiiliiliiiiil
; %bb.0:
	s_load_dwordx2 s[18:19], s[0:1], 0x64
	s_load_dwordx2 s[52:53], s[0:1], 0x80
	s_load_dwordx2 s[10:11], s[0:1], 0xb8
	s_load_dwordx4 s[12:15], s[0:1], 0x40
	s_load_dwordx2 s[22:23], s[0:1], 0x50
	s_waitcnt lgkmcnt(0)
	v_cvt_f32_u32_e32 v1, s19
	s_sub_i32 s5, 0, s19
	v_mov_b32_e32 v149, 1.0
	s_mov_b32 s24, s12
	v_rcp_iflag_f32_e32 v1, v1
	s_mov_b32 s25, s13
	v_mul_f32_e32 v1, 0x4f7ffffe, v1
	v_cvt_u32_f32_e32 v1, v1
	s_nop 0
	v_readfirstlane_b32 s6, v1
	s_mul_i32 s5, s5, s6
	s_mul_hi_u32 s5, s6, s5
	s_add_i32 s6, s6, s5
	s_mul_hi_u32 s5, s4, s6
	s_mul_i32 s6, s5, s19
	s_sub_i32 s6, s4, s6
	s_add_i32 s7, s5, 1
	s_sub_i32 s8, s6, s19
	s_cmp_ge_u32 s6, s19
	s_cselect_b32 s5, s7, s5
	s_cselect_b32 s6, s8, s6
	s_add_i32 s7, s5, 1
	s_cmp_ge_u32 s6, s19
	s_cselect_b32 s33, s7, s5
	s_abs_i32 s5, s53
	v_cvt_f32_u32_e32 v1, s5
	s_mul_i32 s8, s33, s19
	s_sub_i32 s9, 0, s5
	s_sub_i32 s20, s4, s8
	v_rcp_iflag_f32_e32 v1, v1
	s_abs_i32 s7, s19
	s_xor_b32 s6, s19, s53
	s_ashr_i32 s6, s6, 31
	v_mul_f32_e32 v1, 0x4f7ffffe, v1
	v_cvt_u32_f32_e32 v1, v1
	s_nop 0
	v_readfirstlane_b32 s4, v1
	s_mul_i32 s9, s9, s4
	s_mul_hi_u32 s8, s4, s9
	s_add_i32 s4, s4, s8
	s_mul_hi_u32 s4, s7, s4
	s_mul_i32 s8, s4, s5
	s_sub_i32 s7, s7, s8
	s_add_i32 s9, s4, 1
	s_sub_i32 s8, s7, s5
	s_cmp_ge_u32 s7, s5
	s_cselect_b32 s4, s9, s4
	s_cselect_b32 s7, s8, s7
	s_add_i32 s8, s4, 1
	s_cmp_ge_u32 s7, s5
	s_cselect_b32 s4, s8, s4
	s_xor_b32 s4, s4, s6
	s_sub_i32 s29, s4, s6
	s_abs_i32 s10, s10
	s_abs_i32 s28, s29
	v_cvt_f32_u32_e32 v1, s10
	v_cvt_f32_u32_e32 v2, s28
	v_cmp_le_f32_e64 s[4:5], s13, 0
	s_and_b64 vcc, exec, s[4:5]
	v_rcp_iflag_f32_e32 v1, v1
	v_rcp_iflag_f32_e32 v2, v2
	v_mul_f32_e32 v1, 0x4f7ffffe, v1
	v_mul_f32_e32 v2, 0x4f7ffffe, v2
	v_cvt_u32_f32_e32 v1, v1
	v_cvt_u32_f32_e32 v2, v2
	v_readfirstlane_b32 s30, v1
	v_readfirstlane_b32 s31, v2
	s_cbranch_vccnz .LBB31_2
; %bb.1:
	s_sub_i32 s4, s20, s22
	s_lshl_b32 s4, s4, 1
	s_add_i32 s6, s20, 1
	s_or_b32 s7, s4, 1
	s_cmp_lt_u32 s20, s22
	s_cselect_b64 vcc, -1, 0
	s_and_b64 s[4:5], vcc, exec
	v_mov_b32_e32 v1, s15
	v_mov_b32_e32 v2, s14
	s_cselect_b32 s4, s6, s7
	v_cndmask_b32_e32 v18, v1, v2, vcc
	v_cvt_f32_i32_e32 v1, s4
	v_cmp_neq_f32_e32 vcc, 1.0, v18
	s_mov_b32 s4, 0x3f2aaaab
	s_movk_i32 s6, 0x204
	v_cndmask_b32_e32 v19, 1.0, v1, vcc
	v_cmp_eq_f32_e32 vcc, 0, v19
	s_mov_b32 s8, 0x42b17218
	s_mov_b32 s7, 0x7f800000
	v_cndmask_b32_e64 v20, |v18|, 1.0, vcc
	v_frexp_mant_f32_e32 v1, v20
	v_cmp_gt_f32_e64 s[4:5], s4, v1
	s_brev_b32 s13, -2
	s_nop 0
	v_cndmask_b32_e64 v2, 1.0, 2.0, s[4:5]
	v_mul_f32_e32 v1, v1, v2
	v_add_f32_e32 v2, 1.0, v1
	v_rcp_f32_e32 v10, v2
	v_add_f32_e32 v3, -1.0, v2
	v_sub_f32_e32 v5, v1, v3
	v_add_f32_e32 v3, -1.0, v1
	v_mul_f32_e32 v1, v3, v10
	v_mul_f32_e32 v4, v2, v1
	v_fma_f32 v6, v1, v2, -v4
	v_fmac_f32_e32 v6, v1, v5
	v_add_f32_e32 v2, v4, v6
	v_sub_f32_e32 v5, v3, v2
	v_pk_add_f32 v[8:9], v[2:3], v[4:5] neg_lo:[0,1] neg_hi:[0,1]
	v_mov_b32_e32 v7, v2
	v_pk_add_f32 v[2:3], v[8:9], v[6:7] neg_lo:[0,1] neg_hi:[0,1]
	v_mov_b32_e32 v6, 0x3e91f4c4
	v_add_f32_e32 v2, v2, v3
	v_add_f32_e32 v2, v5, v2
	v_mul_f32_e32 v3, v10, v2
	v_add_f32_e32 v2, v1, v3
	v_sub_f32_e32 v1, v2, v1
	v_sub_f32_e32 v1, v3, v1
	v_mul_f32_e32 v3, v2, v2
	v_fma_f32 v5, v2, v2, -v3
	v_add_f32_e32 v4, v1, v1
	v_fmac_f32_e32 v5, v2, v4
	v_add_f32_e32 v4, v3, v5
	v_fmac_f32_e32 v6, 0x3e76c4e1, v4
	v_fmaak_f32 v6, v4, v6, 0x3ecccdef
	v_sub_f32_e32 v3, v4, v3
	v_sub_f32_e32 v12, v5, v3
	v_mul_f32_e32 v3, v4, v6
	v_fma_f32 v5, v4, v6, -v3
	v_fmac_f32_e32 v5, v12, v6
	v_add_f32_e32 v6, v3, v5
	v_add_f32_e32 v7, 0x3f2aaaaa, v6
	v_sub_f32_e32 v3, v6, v3
	v_sub_f32_e32 v3, v5, v3
	v_add_f32_e32 v5, 0xbf2aaaaa, v7
	v_add_f32_e32 v3, 0x31739010, v3
	v_sub_f32_e32 v5, v6, v5
	v_pk_mul_f32 v[8:9], v[2:3], v[4:5]
	v_pk_add_f32 v[10:11], v[2:3], v[4:5]
	v_fma_f32 v6, v4, v2, -v8
	v_fmac_f32_e32 v6, v4, v1
	v_mov_b32_e32 v9, v11
	v_fmac_f32_e32 v6, v12, v2
	v_pk_add_f32 v[4:5], v[8:9], v[6:7]
	v_ldexp_f32 v1, v1, 1
	v_sub_f32_e32 v3, v4, v8
	v_sub_f32_e32 v3, v6, v3
	;; [unrolled: 1-line block ×3, first 2 shown]
	v_add_f32_e32 v9, v11, v6
	v_mov_b32_e32 v6, v5
	v_pk_mul_f32 v[6:7], v[4:5], v[6:7]
	v_cvt_f64_f32_e32 v[10:11], v20
	v_frexp_exp_i32_f64_e32 v7, v[10:11]
	v_subbrev_co_u32_e64 v7, s[4:5], 0, v7, s[4:5]
	v_cvt_f32_i32_e32 v7, v7
	v_fma_f32 v8, v4, v5, -v6
	v_fmac_f32_e32 v8, v4, v9
	s_mov_b32 s4, 0x3f317218
	v_mul_f32_e32 v4, 0x3f317218, v7
	v_fmac_f32_e32 v8, v3, v5
	v_fma_f32 v3, v7, s4, -v4
	v_fmamk_f32 v10, v7, 0xb102e308, v3
	v_ldexp_f32 v11, v2, 1
	v_add_f32_e32 v5, v6, v8
	v_pk_add_f32 v[2:3], v[4:5], v[10:11]
	v_mov_b32_e32 v12, v5
	v_mov_b32_e32 v13, v3
	;; [unrolled: 1-line block ×3, first 2 shown]
	v_pk_add_f32 v[6:7], v[12:13], v[6:7] neg_lo:[0,1] neg_hi:[0,1]
	v_mov_b32_e32 v9, v5
	v_pk_add_f32 v[6:7], v[8:9], v[6:7] neg_lo:[0,1] neg_hi:[0,1]
	v_mov_b32_e32 v11, v2
	v_add_f32_e32 v1, v1, v6
	v_add_f32_e32 v5, v1, v7
	v_pk_add_f32 v[6:7], v[2:3], v[4:5] neg_lo:[0,1] neg_hi:[0,1]
	v_pk_add_f32 v[8:9], v[2:3], v[4:5]
	v_mov_b32_e32 v12, v6
	v_mov_b32_e32 v13, v9
	v_pk_add_f32 v[12:13], v[10:11], v[12:13]
	v_pk_add_f32 v[6:7], v[10:11], v[6:7] neg_lo:[0,1] neg_hi:[0,1]
	v_mov_b32_e32 v4, v13
	v_pk_add_f32 v[14:15], v[4:5], v[2:3] neg_lo:[0,1] neg_hi:[0,1]
	v_mov_b32_e32 v12, v9
	v_mov_b32_e32 v1, v14
	;; [unrolled: 1-line block ×4, first 2 shown]
	v_pk_add_f32 v[16:17], v[8:9], v[0:1] neg_lo:[0,1] neg_hi:[0,1]
	v_pk_add_f32 v[2:3], v[12:13], v[2:3] neg_lo:[0,1] neg_hi:[0,1]
	v_mov_b32_e32 v10, v5
	v_pk_add_f32 v[2:3], v[10:11], v[2:3] neg_lo:[0,1] neg_hi:[0,1]
	v_mov_b32_e32 v16, v6
	v_pk_add_f32 v[8:9], v[16:17], v[2:3]
	v_mov_b32_e32 v7, v13
	v_mov_b32_e32 v10, v9
	v_pk_add_f32 v[10:11], v[8:9], v[10:11]
	s_nop 0
	v_pk_add_f32 v[4:5], v[4:5], v[10:11]
	v_mov_b32_e32 v3, v10
	v_mov_b32_e32 v9, v4
	v_pk_add_f32 v[12:13], v[8:9], v[6:7] neg_lo:[0,1] neg_hi:[0,1]
	s_nop 0
	v_sub_f32_e32 v1, v8, v12
	v_pk_add_f32 v[2:3], v[2:3], v[12:13] neg_lo:[0,1] neg_hi:[0,1]
	v_sub_f32_e32 v1, v6, v1
	v_add_f32_e32 v1, v2, v1
	v_add_f32_e32 v1, v1, v3
	;; [unrolled: 1-line block ×3, first 2 shown]
	v_sub_f32_e32 v3, v2, v4
	v_sub_f32_e32 v1, v1, v3
	v_mul_f32_e32 v3, v19, v2
	v_fma_f32 v2, v19, v2, -v3
	v_fmac_f32_e32 v2, v19, v1
	v_add_f32_e32 v1, v3, v2
	v_cmp_class_f32_e64 s[4:5], v3, s6
	v_sub_f32_e32 v4, v1, v3
	v_sub_f32_e32 v2, v2, v4
	v_cndmask_b32_e64 v1, v1, v3, s[4:5]
	v_mov_b32_e32 v3, 0x37000000
	v_cmp_eq_f32_e64 s[4:5], s8, v1
	s_nop 1
	v_cndmask_b32_e64 v3, 0, v3, s[4:5]
	v_sub_f32_e32 v4, v1, v3
	s_mov_b32 s4, 0x3fb8aa3b
	v_mul_f32_e32 v5, 0x3fb8aa3b, v4
	v_fma_f32 v6, v4, s4, -v5
	v_rndne_f32_e32 v7, v5
	v_fmamk_f32 v6, v4, 0x32a5705f, v6
	v_sub_f32_e32 v5, v5, v7
	v_add_f32_e32 v5, v5, v6
	v_exp_f32_e32 v5, v5
	v_cvt_i32_f32_e32 v6, v7
	v_cmp_neq_f32_e64 s[4:5], |v1|, s7
	s_nop 1
	v_cndmask_b32_e64 v1, 0, v2, s[4:5]
	s_mov_b32 s4, 0xc2ce8ed0
	v_ldexp_f32 v2, v5, v6
	v_cmp_ngt_f32_e64 s[4:5], s4, v4
	v_add_f32_e32 v1, v3, v1
	v_mov_b32_e32 v3, 0x7f800000
	v_cndmask_b32_e64 v2, 0, v2, s[4:5]
	v_cmp_nlt_f32_e64 s[4:5], s8, v4
	v_trunc_f32_e32 v4, v19
	v_mov_b32_e32 v5, 0x7fc00000
	v_cndmask_b32_e64 v2, v3, v2, s[4:5]
	v_fma_f32 v1, v2, v1, v2
	v_cmp_class_f32_e64 s[4:5], v2, s6
	v_cmp_gt_f32_e64 s[8:9], 0, v19
	s_nop 0
	v_cndmask_b32_e64 v1, v1, v2, s[4:5]
	v_cndmask_b32_e64 v2, v18, 1.0, vcc
	v_cmp_eq_f32_e32 vcc, v4, v19
	v_mul_f32_e32 v4, 0.5, v19
	v_trunc_f32_e32 v6, v4
	v_cmp_neq_f32_e64 s[4:5], v6, v4
	s_and_b64 s[4:5], vcc, s[4:5]
	s_nop 0
	v_cndmask_b32_e64 v4, 1.0, v2, s[4:5]
	v_bfi_b32 v1, s13, v1, v4
	v_cndmask_b32_e32 v4, v5, v1, vcc
	v_cmp_gt_f32_e32 vcc, 0, v2
	s_nop 1
	v_cndmask_b32_e32 v1, v1, v4, vcc
	v_cmp_eq_f32_e32 vcc, s7, v20
	v_cmp_eq_f32_e64 s[6:7], 0, v2
	s_xor_b64 s[8:9], s[8:9], s[6:7]
	v_cndmask_b32_e64 v3, v3, 0, s[8:9]
	v_cndmask_b32_e64 v4, 0, v2, s[4:5]
	v_bfi_b32 v3, s13, v3, v4
	s_or_b64 vcc, vcc, s[6:7]
	v_cndmask_b32_e32 v1, v1, v3, vcc
	v_cmp_o_f32_e32 vcc, v2, v2
	s_nop 1
	v_cndmask_b32_e32 v149, v5, v1, vcc
.LBB31_2:
	s_load_dwordx16 s[36:51], s[0:1], 0x0
	s_mov_b32 s4, 0
	s_mov_b32 s5, s4
	v_bfe_u32 v145, v0, 10, 10
	v_and_b32_e32 v144, 0x3ff, v0
	v_mov_b32_e32 v28, 0
	s_mov_b32 s6, s4
	s_mov_b32 s7, s4
	v_mov_b64_e32 v[0:1], s[4:5]
	s_lshl_b32 s22, s2, 1
	v_mov_b64_e32 v[2:3], s[6:7]
	v_mov_b32_e32 v29, v28
	v_mov_b32_e32 v30, v28
	v_cmp_lt_u32_e64 s[16:17], 1, v145
	v_cmp_gt_u32_e32 vcc, 2, v145
	scratch_store_dword off, v28, off
	scratch_store_dwordx4 off, v[0:3], off offset:4
	scratch_store_dwordx4 off, v[0:3], off offset:20
	;; [unrolled: 1-line block ×7, first 2 shown]
	scratch_store_dwordx3 off, v[28:30], off offset:116
	s_and_saveexec_b64 s[6:7], vcc
	s_cbranch_execz .LBB31_17
; %bb.3:
	v_lshlrev_b32_e32 v5, 9, v145
	v_or_b32_e32 v0, s22, v145
	v_cmp_le_i32_e32 vcc, s18, v0
	v_lshl_add_u32 v6, v144, 2, v5
	s_and_saveexec_b64 s[4:5], vcc
	s_xor_b64 s[4:5], exec, s[4:5]
	s_cbranch_execz .LBB31_7
; %bb.4:
	v_mov_b32_e32 v0, 0
	v_cmp_gt_u32_e32 vcc, 8, v144
	ds_write2_b32 v6, v0, v0 offset1:32
	s_and_saveexec_b64 s[8:9], vcc
	s_cbranch_execz .LBB31_6
; %bb.5:
	v_lshl_add_u32 v2, v144, 2, v6
	v_mov_b32_e32 v1, v0
	ds_write_b64 v2, v[0:1] offset:256
.LBB31_6:
	s_or_b64 exec, exec, s[8:9]
                                        ; implicit-def: $vgpr6
                                        ; implicit-def: $vgpr5
.LBB31_7:
	s_andn2_saveexec_b64 s[4:5], s[4:5]
	s_cbranch_execz .LBB31_17
; %bb.8:
	s_load_dwordx4 s[56:59], s[0:1], 0x70
	v_lshlrev_b32_e32 v2, 4, v144
	v_mov_b32_e32 v3, 0
	s_mov_b32 s13, s12
	s_waitcnt lgkmcnt(0)
	s_mul_i32 s4, s33, s58
	s_mul_i32 s8, s22, s56
	;; [unrolled: 1-line block ×3, first 2 shown]
	s_add_i32 s4, s4, s8
	s_add_i32 s4, s4, s5
	s_ashr_i32 s5, s4, 31
	v_mul_lo_u32 v0, v145, s56
	s_add_u32 s4, s36, s4
	v_ashrrev_i32_e32 v1, 31, v0
	s_addc_u32 s5, s37, s5
	v_lshl_add_u64 v[0:1], s[4:5], 0, v[0:1]
	v_lshl_add_u64 v[0:1], v[0:1], 0, v[2:3]
	global_load_dwordx4 v[14:17], v[0:1], off
	v_mbcnt_lo_u32_b32 v2, -1, 0
	v_mbcnt_hi_u32_b32 v4, -1, v2
	v_and_b32_e32 v2, 0x60, v4
	v_xor_b32_e32 v3, 4, v4
	v_add_u32_e32 v11, 32, v2
	v_xor_b32_e32 v7, 2, v4
	v_cmp_lt_i32_e32 vcc, v3, v11
	v_xor_b32_e32 v9, 1, v4
	s_mov_b32 s8, 0x42fe0000
	v_cndmask_b32_e32 v2, v4, v3, vcc
	v_cmp_lt_i32_e32 vcc, v7, v11
	v_lshlrev_b32_e32 v8, 2, v2
	s_waitcnt vmcnt(0)
	v_mul_f32_e32 v13, s12, v14
	v_cndmask_b32_e32 v3, v4, v7, vcc
	v_mov_b32_e32 v14, v17
	v_lshlrev_b32_e32 v7, 2, v3
	v_pk_mul_f32 v[2:3], v[14:15], s[24:25] op_sel_hi:[1,0]
	v_max_f32_e64 v12, |v13|, |v13|
	v_mul_f32_e32 v10, s12, v16
	v_max_f32_e64 v12, v12, |v3|
	v_max3_f32 v12, v12, |v10|, |v2|
	ds_bpermute_b32 v14, v8, v12
	v_add_f32_e32 v15, v3, v13
	v_fmac_f32_e32 v15, s12, v16
	v_add_f32_e32 v15, v2, v15
	ds_bpermute_b32 v16, v8, v15
	s_waitcnt lgkmcnt(1)
	v_max_f32_e32 v14, v14, v14
	v_max_f32_e32 v12, v12, v14
	ds_bpermute_b32 v14, v7, v12
	v_cmp_lt_i32_e32 vcc, v9, v11
	s_waitcnt lgkmcnt(0)
	v_max_f32_e32 v14, v14, v14
	v_cndmask_b32_e32 v4, v4, v9, vcc
	v_lshlrev_b32_e32 v9, 2, v4
	v_add_f32_e32 v4, v15, v16
	v_max_f32_e32 v12, v12, v14
	ds_bpermute_b32 v11, v7, v4
	ds_bpermute_b32 v15, v9, v12
	v_mov_b32_e32 v14, 0
	s_waitcnt lgkmcnt(1)
	v_add_f32_e32 v11, v4, v11
	s_waitcnt lgkmcnt(0)
	v_max_f32_e32 v4, v15, v15
	v_max_f32_e32 v4, v12, v4
	v_div_scale_f32 v15, s[4:5], s8, s8, v4
	v_rcp_f32_e32 v16, v15
	v_div_scale_f32 v17, vcc, v4, s8, v4
	ds_bpermute_b32 v12, v9, v11
	v_fma_f32 v18, -v15, v16, 1.0
	v_fmac_f32_e32 v16, v18, v16
	v_mul_f32_e32 v18, v17, v16
	v_fma_f32 v19, -v15, v18, v17
	v_fmac_f32_e32 v18, v19, v16
	v_fma_f32 v15, -v15, v18, v17
	v_div_fmas_f32 v15, v15, v16, v18
	v_div_fixup_f32 v4, v15, s8, v4
	v_cmp_neq_f32_e32 vcc, 0, v4
	s_and_saveexec_b64 s[4:5], vcc
	s_cbranch_execz .LBB31_10
; %bb.9:
	v_div_scale_f32 v14, s[8:9], v4, v4, v13
	v_rcp_f32_e32 v15, v14
	v_div_scale_f32 v16, vcc, v13, v4, v13
	s_brev_b32 s14, -2
	v_fma_f32 v17, -v14, v15, 1.0
	v_fmac_f32_e32 v15, v17, v15
	v_mul_f32_e32 v17, v16, v15
	v_fma_f32 v18, -v14, v17, v16
	v_fmac_f32_e32 v17, v18, v15
	v_fma_f32 v14, -v14, v17, v16
	v_div_fmas_f32 v14, v14, v15, v17
	v_div_fixup_f32 v13, v14, v4, v13
	v_trunc_f32_e32 v14, v13
	v_sub_f32_e32 v15, v13, v14
	v_cmp_ge_f32_e64 s[8:9], |v15|, 0.5
	s_nop 1
	v_cndmask_b32_e64 v15, 0, 1.0, s[8:9]
	v_div_scale_f32 v16, s[8:9], v4, v4, v2
	v_rcp_f32_e32 v17, v16
	v_bfi_b32 v13, s14, v15, v13
	v_add_f32_e32 v13, v14, v13
	v_cvt_i32_f32_e32 v13, v13
	v_fma_f32 v14, -v16, v17, 1.0
	v_fmac_f32_e32 v17, v14, v17
	v_div_scale_f32 v14, vcc, v2, v4, v2
	v_mul_f32_e32 v15, v14, v17
	v_fma_f32 v18, -v16, v15, v14
	v_fmac_f32_e32 v15, v18, v17
	v_div_scale_f32 v18, s[8:9], v4, v4, v3
	v_rcp_f32_e32 v19, v18
	v_fma_f32 v14, -v16, v15, v14
	v_div_fmas_f32 v14, v14, v17, v15
	v_div_fixup_f32 v2, v14, v4, v2
	v_fma_f32 v15, -v18, v19, 1.0
	v_fmac_f32_e32 v19, v15, v19
	v_div_scale_f32 v15, vcc, v3, v4, v3
	v_mul_f32_e32 v16, v15, v19
	v_fma_f32 v17, -v18, v16, v15
	v_fmac_f32_e32 v16, v17, v19
	v_div_scale_f32 v17, s[8:9], v4, v4, v10
	v_rcp_f32_e32 v20, v17
	v_fma_f32 v15, -v18, v16, v15
	v_div_fmas_f32 v15, v15, v19, v16
	v_div_fixup_f32 v3, v15, v4, v3
	v_fma_f32 v16, -v17, v20, 1.0
	v_fmac_f32_e32 v20, v16, v20
	v_div_scale_f32 v16, vcc, v10, v4, v10
	v_mul_f32_e32 v18, v16, v20
	v_fma_f32 v19, -v17, v18, v16
	v_fmac_f32_e32 v18, v19, v20
	v_fma_f32 v16, -v17, v18, v16
	v_div_fmas_f32 v16, v16, v20, v18
	v_div_fixup_f32 v10, v16, v4, v10
	v_trunc_f32_e32 v16, v10
	v_sub_f32_e32 v17, v10, v16
	v_trunc_f32_e32 v14, v3
	v_cmp_ge_f32_e64 s[8:9], |v17|, 0.5
	v_sub_f32_e32 v15, v3, v14
	s_nop 0
	v_cndmask_b32_e64 v17, 0, 1.0, s[8:9]
	v_cmp_ge_f32_e64 s[8:9], |v15|, 0.5
	v_bfi_b32 v10, s14, v17, v10
	v_add_f32_e32 v10, v16, v10
	v_cndmask_b32_e64 v15, 0, 1.0, s[8:9]
	v_bfi_b32 v3, s14, v15, v3
	v_add_f32_e32 v3, v14, v3
	v_trunc_f32_e32 v14, v2
	v_sub_f32_e32 v15, v2, v14
	v_cmp_ge_f32_e64 s[8:9], |v15|, 0.5
	v_cvt_i32_f32_e32 v10, v10
	v_cvt_i32_f32_e32 v3, v3
	v_cndmask_b32_e64 v15, 0, 1.0, s[8:9]
	v_bfi_b32 v2, s14, v15, v2
	v_add_f32_e32 v2, v14, v2
	v_cvt_i32_f32_e32 v2, v2
	v_and_b32_e32 v10, 0xff, v10
	v_lshlrev_b32_e32 v10, 16, v10
	v_mov_b32_e32 v14, 8
	v_lshlrev_b32_sdwa v3, v14, v3 dst_sel:DWORD dst_unused:UNUSED_PAD src0_sel:DWORD src1_sel:BYTE_0
	v_lshl_or_b32 v2, v2, 24, v10
	v_and_b32_e32 v10, 0xff, v13
	v_or3_b32 v14, v2, v3, v10
.LBB31_10:
	s_or_b64 exec, exec, s[4:5]
	v_and_b32_e32 v2, 7, v144
	v_cmp_eq_u32_e64 s[4:5], 0, v2
	v_add_u32_e32 v10, v5, v144
	ds_write_b32 v6, v14
	s_and_saveexec_b64 s[8:9], s[4:5]
	s_cbranch_execz .LBB31_12
; %bb.11:
	s_waitcnt lgkmcnt(1)
	v_add_f32_e32 v5, v11, v12
	ds_write_b64 v10, v[4:5] offset:256
.LBB31_12:
	s_or_b64 exec, exec, s[8:9]
	global_load_dwordx4 v[0:3], v[0:1], off offset:512
	s_waitcnt vmcnt(0)
	v_mul_f32_e32 v11, s12, v0
	v_mov_b32_e32 v0, v3
	v_pk_mul_f32 v[0:1], v[0:1], s[12:13]
	v_max_f32_e64 v3, |v11|, |v11|
	v_mul_f32_e32 v5, s12, v2
	v_max_f32_e64 v3, v3, |v1|
	v_max3_f32 v3, v3, |v5|, |v0|
	ds_bpermute_b32 v4, v8, v3
	s_waitcnt lgkmcnt(2)
	v_add_f32_e32 v12, v1, v11
	v_fmac_f32_e32 v12, s12, v2
	v_add_f32_e32 v2, v0, v12
	ds_bpermute_b32 v8, v8, v2
	s_waitcnt lgkmcnt(1)
	v_max_f32_e32 v4, v4, v4
	v_max_f32_e32 v3, v3, v4
	ds_bpermute_b32 v4, v7, v3
	s_mov_b32 s12, 0x42fe0000
	s_waitcnt lgkmcnt(1)
	v_add_f32_e32 v2, v2, v8
	ds_bpermute_b32 v7, v7, v2
	s_waitcnt lgkmcnt(1)
	v_max_f32_e32 v4, v4, v4
	v_max_f32_e32 v4, v3, v4
	ds_bpermute_b32 v8, v9, v4
	s_waitcnt lgkmcnt(1)
	v_add_f32_e32 v3, v2, v7
	s_waitcnt lgkmcnt(0)
	v_max_f32_e32 v2, v8, v8
	v_max_f32_e32 v2, v4, v2
	v_div_scale_f32 v7, s[8:9], s12, s12, v2
	v_rcp_f32_e32 v8, v7
	ds_bpermute_b32 v4, v9, v3
	v_div_scale_f32 v9, vcc, v2, s12, v2
	v_fma_f32 v12, -v7, v8, 1.0
	v_fmac_f32_e32 v8, v12, v8
	v_mul_f32_e32 v12, v9, v8
	v_fma_f32 v13, -v7, v12, v9
	v_fmac_f32_e32 v12, v13, v8
	v_fma_f32 v7, -v7, v12, v9
	v_div_fmas_f32 v7, v7, v8, v12
	v_div_fixup_f32 v2, v7, s12, v2
	v_cmp_neq_f32_e32 vcc, 0, v2
	v_mov_b32_e32 v7, 0
	s_and_saveexec_b64 s[8:9], vcc
	s_cbranch_execz .LBB31_14
; %bb.13:
	v_div_scale_f32 v7, s[12:13], v2, v2, v11
	v_rcp_f32_e32 v8, v7
	v_div_scale_f32 v9, vcc, v11, v2, v11
	s_brev_b32 s14, -2
	v_fma_f32 v12, -v7, v8, 1.0
	v_fmac_f32_e32 v8, v12, v8
	v_mul_f32_e32 v12, v9, v8
	v_fma_f32 v13, -v7, v12, v9
	v_fmac_f32_e32 v12, v13, v8
	v_fma_f32 v7, -v7, v12, v9
	v_div_fmas_f32 v7, v7, v8, v12
	v_div_fixup_f32 v7, v7, v2, v11
	v_trunc_f32_e32 v8, v7
	v_sub_f32_e32 v9, v7, v8
	v_cmp_ge_f32_e64 s[12:13], |v9|, 0.5
	s_nop 1
	v_cndmask_b32_e64 v9, 0, 1.0, s[12:13]
	v_div_scale_f32 v11, s[12:13], v2, v2, v0
	v_rcp_f32_e32 v12, v11
	v_bfi_b32 v7, s14, v9, v7
	v_add_f32_e32 v7, v8, v7
	v_cvt_i32_f32_e32 v7, v7
	v_fma_f32 v8, -v11, v12, 1.0
	v_fmac_f32_e32 v12, v8, v12
	v_div_scale_f32 v8, vcc, v0, v2, v0
	v_mul_f32_e32 v9, v8, v12
	v_fma_f32 v13, -v11, v9, v8
	v_fmac_f32_e32 v9, v13, v12
	v_div_scale_f32 v13, s[12:13], v2, v2, v1
	v_rcp_f32_e32 v14, v13
	v_fma_f32 v8, -v11, v9, v8
	v_div_fmas_f32 v8, v8, v12, v9
	v_div_fixup_f32 v0, v8, v2, v0
	v_fma_f32 v9, -v13, v14, 1.0
	v_fmac_f32_e32 v14, v9, v14
	v_div_scale_f32 v9, vcc, v1, v2, v1
	v_mul_f32_e32 v11, v9, v14
	v_fma_f32 v12, -v13, v11, v9
	v_fmac_f32_e32 v11, v12, v14
	v_div_scale_f32 v12, s[12:13], v2, v2, v5
	v_rcp_f32_e32 v15, v12
	v_fma_f32 v9, -v13, v11, v9
	v_div_fmas_f32 v9, v9, v14, v11
	v_div_fixup_f32 v1, v9, v2, v1
	v_fma_f32 v11, -v12, v15, 1.0
	v_fmac_f32_e32 v15, v11, v15
	v_div_scale_f32 v11, vcc, v5, v2, v5
	v_mul_f32_e32 v13, v11, v15
	v_fma_f32 v14, -v12, v13, v11
	v_fmac_f32_e32 v13, v14, v15
	v_fma_f32 v11, -v12, v13, v11
	v_div_fmas_f32 v11, v11, v15, v13
	v_div_fixup_f32 v5, v11, v2, v5
	v_trunc_f32_e32 v11, v5
	v_sub_f32_e32 v12, v5, v11
	v_trunc_f32_e32 v8, v1
	v_cmp_ge_f32_e64 s[12:13], |v12|, 0.5
	v_sub_f32_e32 v9, v1, v8
	s_nop 0
	v_cndmask_b32_e64 v12, 0, 1.0, s[12:13]
	v_cmp_ge_f32_e64 s[12:13], |v9|, 0.5
	v_bfi_b32 v5, s14, v12, v5
	v_add_f32_e32 v5, v11, v5
	v_cndmask_b32_e64 v9, 0, 1.0, s[12:13]
	v_bfi_b32 v1, s14, v9, v1
	v_add_f32_e32 v1, v8, v1
	v_trunc_f32_e32 v8, v0
	v_sub_f32_e32 v9, v0, v8
	v_cmp_ge_f32_e64 s[12:13], |v9|, 0.5
	v_cvt_i32_f32_e32 v5, v5
	v_cvt_i32_f32_e32 v1, v1
	v_cndmask_b32_e64 v9, 0, 1.0, s[12:13]
	v_bfi_b32 v0, s14, v9, v0
	v_add_f32_e32 v0, v8, v0
	v_cvt_i32_f32_e32 v0, v0
	v_and_b32_e32 v5, 0xff, v5
	v_lshlrev_b32_e32 v5, 16, v5
	v_mov_b32_e32 v8, 8
	v_lshlrev_b32_sdwa v1, v8, v1 dst_sel:DWORD dst_unused:UNUSED_PAD src0_sel:DWORD src1_sel:BYTE_0
	v_lshl_or_b32 v0, v0, 24, v5
	v_and_b32_e32 v5, 0xff, v7
	v_or3_b32 v7, v0, v1, v5
.LBB31_14:
	s_or_b64 exec, exec, s[8:9]
	ds_write_b32 v6, v7 offset:128
	s_and_saveexec_b64 s[8:9], s[4:5]
	s_cbranch_execz .LBB31_16
; %bb.15:
	s_waitcnt lgkmcnt(1)
	v_add_f32_e32 v3, v3, v4
	ds_write_b64 v10, v[2:3] offset:288
.LBB31_16:
	s_or_b64 exec, exec, s[8:9]
.LBB31_17:
	s_or_b64 exec, exec, s[6:7]
	v_and_b32_e32 v32, 3, v144
	v_lshlrev_b32_e32 v33, 2, v32
	s_waitcnt lgkmcnt(0)
	s_barrier
	ds_read2_b32 v[70:71], v33 offset1:4
	ds_read2_b32 v[72:73], v33 offset0:8 offset1:12
	ds_read_b128 v[0:3], v28 offset:256
	ds_read_b128 v[4:7], v28 offset:272
	;; [unrolled: 1-line block ×4, first 2 shown]
	ds_read2_b32 v[74:75], v33 offset0:16 offset1:20
	ds_read2_b32 v[76:77], v33 offset0:24 offset1:28
	;; [unrolled: 1-line block ×9, first 2 shown]
	ds_read_b128 v[16:19], v28 offset:768
	ds_read_b128 v[20:23], v28 offset:784
	ds_read2_b32 v[92:93], v33 offset0:152 offset1:156
	ds_read2_b32 v[94:95], v33 offset0:160 offset1:164
	ds_read2_b32 v[96:97], v33 offset0:168 offset1:172
	ds_read2_b32 v[98:99], v33 offset0:176 offset1:180
	ds_read_b128 v[24:27], v28 offset:800
	ds_read_b128 v[28:31], v28 offset:816
	ds_read2_b32 v[100:101], v33 offset0:184 offset1:188
	s_cmp_eq_u64 s[46:47], 0
	s_mov_b32 s21, s52
	s_waitcnt lgkmcnt(0)
	s_barrier
	s_cbranch_scc1 .LBB31_19
; %bb.18:
	s_load_dword s4, s[0:1], 0xd0
	s_mov_b32 s5, 0
	s_waitcnt lgkmcnt(0)
	s_mul_i32 s4, s4, s33
	s_add_i32 s4, s4, s2
	s_lshl_b64 s[4:5], s[4:5], 2
	s_add_u32 s4, s46, s4
	s_addc_u32 s5, s47, s5
	s_load_dword s21, s[4:5], 0x0
.LBB31_19:
	v_lshlrev_b32_e32 v33, 5, v145
	s_mov_b32 s4, 0xfeffffff
	s_mov_b32 s27, 0
	v_add_u32_e32 v146, v33, v144
	s_lshl_b32 s24, s3, 7
	s_mov_b32 s5, s4
	s_mov_b32 s26, s27
	s_waitcnt lgkmcnt(0)
	s_cmp_ge_i32 s24, s21
	v_mov_b64_e32 v[68:69], s[26:27]
	v_mov_b64_e32 v[138:139], s[4:5]
	v_lshlrev_b32_e32 v148, 2, v144
	v_mbcnt_lo_u32_b32 v150, -1, 0
	v_lshlrev_b32_e32 v147, 1, v146
	s_cbranch_scc1 .LBB31_70
; %bb.20:
	s_sub_i32 s2, 0, s28
	s_load_dwordx2 s[46:47], s[0:1], 0x8c
	s_load_dwordx4 s[12:15], s[0:1], 0x98
	s_sub_i32 s4, 0, s10
	s_mul_i32 s2, s2, s31
	s_mul_i32 s4, s4, s30
	s_mul_hi_u32 s2, s31, s2
	s_mul_hi_u32 s4, s30, s4
	s_abs_i32 s5, s20
	s_add_i32 s31, s31, s2
	s_add_i32 s30, s30, s4
	s_mul_hi_u32 s4, s5, s31
	s_ashr_i32 s6, s20, 31
	s_ashr_i32 s7, s29, 31
	;; [unrolled: 1-line block ×3, first 2 shown]
	s_waitcnt lgkmcnt(0)
	s_mul_i32 s13, s33, s13
	s_mul_hi_u32 s25, s33, s12
	s_xor_b32 s6, s6, s7
	s_mul_i32 s7, s4, s28
	s_add_i32 s13, s25, s13
	s_mul_i32 s25, s9, s12
	s_sub_i32 s5, s5, s7
	s_abs_i32 s2, s33
	s_add_i32 s13, s13, s25
	s_add_i32 s7, s4, 1
	s_sub_i32 s25, s5, s28
	s_cmp_ge_u32 s5, s28
	s_cselect_b32 s4, s7, s4
	s_cselect_b32 s5, s25, s5
	s_add_i32 s7, s4, 1
	s_cmp_ge_u32 s5, s28
	s_cselect_b32 s4, s7, s4
	s_xor_b32 s4, s4, s6
	s_sub_i32 s25, s4, s6
	s_load_dwordx2 s[6:7], s[0:1], 0xa8
	s_mul_i32 s4, s25, s47
	s_mul_i32 s12, s33, s12
	s_ashr_i32 s5, s4, 31
	s_add_u32 s12, s38, s12
	s_addc_u32 s13, s39, s13
	s_add_u32 s12, s12, s4
	s_waitcnt lgkmcnt(0)
	s_mul_i32 s7, s33, s7
	s_mul_hi_u32 s28, s33, s6
	s_addc_u32 s13, s13, s5
	s_add_i32 s7, s28, s7
	s_mul_i32 s28, s9, s6
	s_mul_i32 s25, s25, s15
	s_add_i32 s7, s7, s28
	s_mul_i32 s6, s33, s6
	s_ashr_i32 s15, s25, 31
	s_add_u32 s6, s40, s6
	s_mul_hi_u32 s8, s2, s30
	s_addc_u32 s7, s41, s7
	s_add_u32 s6, s6, s25
	s_mul_i32 s8, s8, s10
	s_addc_u32 s7, s7, s15
	s_sub_i32 s2, s2, s8
	s_sub_i32 s8, s2, s10
	s_cmp_ge_u32 s2, s10
	s_cselect_b32 s2, s8, s2
	s_sub_i32 s8, s2, s10
	s_load_dwordx2 s[4:5], s[0:1], 0xc8
	s_load_dword s26, s[0:1], 0xd4
	s_cmp_ge_u32 s2, s10
	s_cselect_b32 s2, s8, s2
	s_xor_b32 s2, s2, s9
	s_sub_i32 s2, s2, s9
	s_ashr_i32 s8, s2, 31
	s_waitcnt lgkmcnt(0)
	s_mul_i32 s5, s2, s5
	s_mul_hi_u32 s9, s2, s4
	s_add_i32 s5, s9, s5
	s_mul_i32 s8, s8, s4
	s_add_i32 s5, s5, s8
	s_mul_i32 s2, s2, s4
	s_add_u32 s2, s42, s2
	s_addc_u32 s4, s43, s5
	s_mul_i32 s5, s22, s11
	s_ashr_i32 s8, s5, 31
	s_add_u32 s2, s2, s5
	s_mov_b32 s25, s27
	s_addc_u32 s8, s4, s8
	s_lshl_b64 s[4:5], s[24:25], 1
	s_add_u32 s28, s2, s4
	s_addc_u32 s29, s8, s5
	s_mul_i32 s2, s24, s14
	s_add_u32 s30, s6, s2
	s_addc_u32 s31, s7, 0
	s_mul_i32 s2, s24, s46
	s_add_u32 s34, s12, s2
	v_and_b32_e32 v34, 0x7c, v144
	v_mbcnt_hi_u32_b32 v35, -1, v150
	s_addc_u32 s35, s13, 0
	v_add_u32_e32 v102, v33, v34
	v_and_b32_e32 v34, 0x7c, v35
	v_add_u32_e32 v34, 4, v34
	v_xor_b32_e32 v36, 2, v35
	s_cmp_lg_u64 s[42:43], 0
	v_cmp_lt_i32_e32 vcc, v36, v34
	s_cselect_b64 s[6:7], -1, 0
	s_lshl_b32 s26, s26, 7
	v_cndmask_b32_e32 v36, v35, v36, vcc
	s_cmp_lt_i32 s22, s18
	v_lshlrev_b32_e32 v151, 2, v36
	v_xor_b32_e32 v36, 1, v35
	s_cselect_b64 s[8:9], -1, 0
	v_cmp_lt_i32_e32 vcc, v36, v34
	s_and_b64 s[36:37], s[6:7], s[8:9]
	s_or_b32 s8, s22, 1
	v_cndmask_b32_e32 v34, v35, v36, vcc
	s_cmp_lt_i32 s8, s18
	v_lshlrev_b32_e32 v152, 2, v34
	v_and_b32_e32 v34, 0x60, v35
	s_cselect_b64 s[8:9], -1, 0
	v_add_u32_e32 v36, 32, v34
	v_cmp_eq_u32_e64 s[4:5], 0, v32
	s_and_b64 s[38:39], s[6:7], s[8:9]
	v_cmp_eq_u32_e64 s[6:7], 1, v32
	v_cmp_eq_u32_e64 s[8:9], 2, v32
	;; [unrolled: 1-line block ×3, first 2 shown]
	v_xor_b32_e32 v32, 4, v35
	v_cmp_lt_i32_e32 vcc, v32, v36
	v_lshrrev_b32_e32 v37, 3, v144
	v_mul_lo_u32 v108, v102, s46
	v_cndmask_b32_e32 v32, v35, v32, vcc
	v_lshlrev_b32_e32 v153, 2, v32
	v_xor_b32_e32 v32, 8, v35
	v_cmp_lt_i32_e32 vcc, v32, v36
	v_add_u32_e32 v112, s46, v108
	v_mov_b32_e32 v107, 0
	v_cndmask_b32_e32 v32, v35, v32, vcc
	v_lshlrev_b32_e32 v154, 2, v32
	v_xor_b32_e32 v32, 16, v35
	v_cmp_lt_i32_e32 vcc, v32, v36
	v_lshlrev_b32_e32 v34, 3, v144
	v_add_u32_e32 v114, s46, v112
	v_cndmask_b32_e32 v32, v35, v32, vcc
	v_lshlrev_b32_e32 v155, 2, v32
	v_or_b32_e32 v32, v33, v37
	v_lshlrev_b32_e32 v156, 1, v32
	v_mul_lo_u32 v118, v32, s14
	v_add_u32_e32 v33, v33, v37
	v_or_b32_e32 v32, 16, v32
	v_add_u32_e32 v35, 4, v33
	v_mul_lo_u32 v126, v32, s14
	v_add_u32_e32 v32, 20, v33
	v_mul_lo_u32 v120, v35, s14
	;; [unrolled: 2-line block ×5, first 2 shown]
	v_add_u32_e32 v32, 28, v33
	v_and_b32_e32 v34, 56, v34
	v_mov_b32_e32 v103, v107
	v_add_u32_e32 v110, s52, v102
	v_add_u32_e32 v116, s46, v114
	v_mov_b32_e32 v36, 0x100
	v_mul_lo_u32 v124, v35, s14
	v_mul_lo_u32 v132, v32, s14
	s_ashr_i32 s53, s52, 31
	v_mov_b32_e32 v140, 0xfeffffff
	v_and_b32_e32 v104, 12, v148
	v_mov_b32_e32 v105, v107
	s_mul_i32 s2, s26, s46
	s_mul_i32 s25, s26, s14
	v_ashrrev_i32_e32 v109, 31, v108
	v_ashrrev_i32_e32 v111, 31, v110
	;; [unrolled: 1-line block ×6, first 2 shown]
	v_lshl_add_u32 v157, v33, 1, v36
	v_ashrrev_i32_e32 v121, 31, v120
	v_ashrrev_i32_e32 v123, 31, v122
	;; [unrolled: 1-line block ×7, first 2 shown]
	v_lshl_add_u64 v[134:135], v[102:103], 0, s[52:53]
	s_mov_b32 s42, 0x3f200000
	s_mov_b32 s43, 0x3fb8aa3b
	;; [unrolled: 1-line block ×4, first 2 shown]
	v_mov_b32_e32 v103, 0x3ca908c9
	s_brev_b32 s52, -2
	v_lshlrev_b32_e32 v106, 1, v34
	v_mov_b32_e32 v158, 0x7f800000
	v_mov_b32_e32 v68, v107
	v_mov_b32_e32 v69, v107
	v_mov_b32_e32 v141, v140
                                        ; implicit-def: $vgpr32
                                        ; implicit-def: $vgpr32
	;; [unrolled: 1-line block ×3, first 2 shown]
                                        ; implicit-def: $vgpr136
	s_branch .LBB31_22
.LBB31_21:                              ;   in Loop: Header=BB31_22 Depth=1
	v_cndmask_b32_e64 v32, v136, v34, s[4:5]
	v_cndmask_b32_e64 v32, v32, v37, s[6:7]
	;; [unrolled: 1-line block ×3, first 2 shown]
	v_add_f32_e32 v34, 0x40051340, v34
	v_add_f32_e32 v37, 0x40051340, v37
	v_max3_f32 v34, v140, v34, v37
	v_add_f32_e32 v37, 0x40051340, v39
	v_add_f32_e32 v39, 0x40051340, v51
	v_cndmask_b32_e64 v32, v32, v51, s[10:11]
	scratch_load_dwordx4 v[48:51], off, off
	scratch_load_dwordx4 v[56:59], off, off offset:16
	scratch_load_dwordx4 v[60:63], off, off offset:32
	;; [unrolled: 1-line block ×3, first 2 shown]
	v_cndmask_b32_e64 v33, v137, v35, s[4:5]
	v_cndmask_b32_e64 v33, v33, v38, s[6:7]
	v_add_f32_e32 v35, 0x40051340, v35
	v_add_f32_e32 v38, 0x40051340, v38
	v_cndmask_b32_e64 v33, v33, v40, s[8:9]
	v_max3_f32 v35, v141, v35, v38
	v_add_f32_e32 v38, 0x40051340, v40
	v_add_f32_e32 v40, 0x40051340, v36
	v_max3_f32 v35, v35, v38, v40
	ds_bpermute_b32 v38, v153, v35
	v_max3_f32 v34, v34, v37, v39
	ds_bpermute_b32 v37, v153, v34
	v_cndmask_b32_e64 v33, v33, v36, s[10:11]
	s_add_i32 s24, s26, s24
	s_waitcnt lgkmcnt(1)
	v_max_f32_e32 v36, v38, v38
	v_max_f32_e32 v35, v35, v36
	s_waitcnt lgkmcnt(0)
	v_max_f32_e32 v36, v37, v37
	ds_bpermute_b32 v37, v154, v35
	v_max_f32_e32 v34, v34, v36
	ds_bpermute_b32 v36, v154, v34
	s_add_u32 s34, s34, s2
	s_addc_u32 s35, s35, 0
	s_waitcnt lgkmcnt(1)
	v_max_f32_e32 v37, v37, v37
	v_max_f32_e32 v35, v35, v37
	s_waitcnt lgkmcnt(0)
	v_max_f32_e32 v36, v36, v36
	ds_bpermute_b32 v37, v155, v35
	v_max_f32_e32 v34, v34, v36
	ds_bpermute_b32 v36, v155, v34
	s_waitcnt lgkmcnt(1)
	v_max_f32_e32 v37, v37, v37
	v_max_f32_e32 v139, v35, v37
	s_waitcnt lgkmcnt(0)
	v_max_f32_e32 v35, v36, v36
	v_max_f32_e32 v138, v34, v35
	v_pk_add_f32 v[64:65], v[32:33], v[138:139] neg_lo:[0,1] neg_hi:[0,1]
	v_pk_add_f32 v[140:141], v[140:141], v[138:139] neg_lo:[0,1] neg_hi:[0,1]
	v_mul_f32_e32 v32, 0x3fb8aa3b, v65
	v_fma_f32 v33, v65, s43, -v32
	v_rndne_f32_e32 v34, v32
	v_mul_f32_e32 v40, 0x3fb8aa3b, v64
	v_fmac_f32_e32 v33, 0x32a5705f, v65
	v_sub_f32_e32 v32, v32, v34
	v_fma_f32 v41, v64, s43, -v40
	v_rndne_f32_e32 v42, v40
	v_add_f32_e32 v32, v32, v33
	v_fmac_f32_e32 v41, 0x32a5705f, v64
	v_sub_f32_e32 v40, v40, v42
	v_exp_f32_e32 v36, v32
	v_cvt_i32_f32_e32 v37, v34
	v_add_f32_e32 v40, v40, v41
	v_exp_f32_e32 v45, v40
	v_cvt_i32_f32_e32 v46, v42
	v_ldexp_f32 v44, v36, v37
	v_cmp_ngt_f32_e32 vcc, s46, v65
	v_cmp_ngt_f32_e64 s[12:13], s46, v64
	scratch_load_dwordx4 v[36:39], off, off offset:80
	scratch_load_dwordx4 v[40:43], off, off offset:96
	v_cndmask_b32_e32 v137, 0, v44, vcc
	v_cmp_nlt_f32_e32 vcc, s47, v65
	v_ldexp_f32 v65, v45, v46
	v_cndmask_b32_e64 v65, 0, v65, s[12:13]
	v_cmp_nlt_f32_e64 s[12:13], s47, v64
	scratch_load_dwordx4 v[44:47], off, off offset:112
	scratch_load_dwordx4 v[32:35], off, off offset:64
	v_cndmask_b32_e64 v136, v158, v65, s[12:13]
	v_lshl_add_u64 v[64:65], s[30:31], 0, v[118:119]
	v_cvt_f16_f32_e32 v159, v136
	v_lshl_add_u64 v[142:143], v[64:65], 0, v[106:107]
	global_load_dwordx4 v[64:67], v[142:143], off
	v_cndmask_b32_e32 v137, v158, v137, vcc
	ds_write_b16 v147, v159
	v_mul_f32_e32 v159, 0x3fb8aa3b, v141
	v_fma_f32 v160, v141, s43, -v159
	v_rndne_f32_e32 v161, v159
	v_fmac_f32_e32 v160, 0x32a5705f, v141
	v_sub_f32_e32 v159, v159, v161
	v_add_f32_e32 v159, v159, v160
	v_cvt_i32_f32_e32 v160, v161
	v_mul_f32_e32 v161, 0x3fb8aa3b, v140
	v_fma_f32 v162, v140, s43, -v161
	v_rndne_f32_e32 v163, v161
	v_fmac_f32_e32 v162, 0x32a5705f, v140
	v_sub_f32_e32 v161, v161, v163
	v_exp_f32_e32 v159, v159
	v_add_f32_e32 v161, v161, v162
	v_exp_f32_e32 v161, v161
	v_cvt_i32_f32_e32 v162, v163
	v_ldexp_f32 v159, v159, v160
	v_cmp_ngt_f32_e32 vcc, s46, v141
	v_ldexp_f32 v160, v161, v162
	s_nop 0
	v_cndmask_b32_e32 v159, 0, v159, vcc
	v_cmp_ngt_f32_e32 vcc, s46, v140
	s_nop 1
	v_cndmask_b32_e32 v160, 0, v160, vcc
	v_cmp_nlt_f32_e32 vcc, s47, v140
	s_nop 1
	v_cndmask_b32_e32 v140, v158, v160, vcc
	global_load_dwordx4 v[160:163], v[142:143], off offset:128
	v_cvt_f16_f32_e32 v164, v140
	v_cmp_nlt_f32_e32 vcc, s47, v141
	s_waitcnt vmcnt(8)
	v_pk_mul_f16 v56, v164, v56 op_sel_hi:[0,1]
	v_pk_mul_f16 v57, v164, v57 op_sel_hi:[0,1]
	;; [unrolled: 1-line block ×4, first 2 shown]
	scratch_store_dwordx4 off, v[56:59], off offset:16
	s_waitcnt vmcnt(7)
	v_pk_mul_f16 v52, v164, v52 op_sel_hi:[0,1]
	v_pk_mul_f16 v53, v164, v53 op_sel_hi:[0,1]
	v_pk_mul_f16 v54, v164, v54 op_sel_hi:[0,1]
	v_pk_mul_f16 v55, v164, v55 op_sel_hi:[0,1]
	v_pk_mul_f16 v56, v164, v60 op_sel_hi:[0,1]
	v_pk_mul_f16 v57, v164, v61 op_sel_hi:[0,1]
	v_pk_mul_f16 v58, v164, v62 op_sel_hi:[0,1]
	v_pk_mul_f16 v59, v164, v63 op_sel_hi:[0,1]
	scratch_store_dwordx4 off, v[52:55], off offset:48
	scratch_load_dwordx4 v[60:63], off, off offset:16
	v_cndmask_b32_e32 v141, v158, v159, vcc
	global_load_dwordx4 v[52:55], v[142:143], off offset:256
	v_cvt_f16_f32_e32 v159, v141
	scratch_store_dwordx4 off, v[56:59], off offset:32
	v_pk_mul_f16 v48, v164, v48 op_sel_hi:[0,1]
	v_pk_mul_f16 v49, v164, v49 op_sel_hi:[0,1]
	v_cvt_f16_f32_e32 v56, v137
	v_pk_mul_f16 v50, v164, v50 op_sel_hi:[0,1]
	v_pk_mul_f16 v51, v164, v51 op_sel_hi:[0,1]
	scratch_store_dwordx4 off, v[48:51], off
	ds_write_b16 v147, v56 offset:256
	v_pk_fma_f32 v[68:69], v[68:69], v[140:141], v[136:137]
	s_waitcnt vmcnt(11)
	v_pk_mul_f16 v56, v159, v36 op_sel_hi:[0,1]
	v_pk_mul_f16 v57, v159, v37 op_sel_hi:[0,1]
	;; [unrolled: 1-line block ×4, first 2 shown]
	scratch_store_dwordx4 off, v[56:59], off offset:80
	s_waitcnt vmcnt(10)
	v_pk_mul_f16 v36, v159, v44 op_sel_hi:[0,1]
	v_pk_mul_f16 v37, v159, v45 op_sel_hi:[0,1]
	;; [unrolled: 1-line block ×4, first 2 shown]
	scratch_store_dwordx4 off, v[36:39], off offset:112
	s_waitcnt vmcnt(10)
	v_pk_mul_f16 v164, v159, v32 op_sel_hi:[0,1]
	v_pk_mul_f16 v165, v159, v33 op_sel_hi:[0,1]
	s_waitcnt vmcnt(9)
	v_lshlrev_b32_e32 v36, 16, v64
	v_and_b32_e32 v37, 0xffff0000, v64
	v_pk_mul_f16 v32, v159, v40 op_sel_hi:[0,1]
	v_pk_mul_f16 v33, v159, v41 op_sel_hi:[0,1]
	v_cvt_f16_f32_e32 v40, v37
	v_cvt_f16_f32_e32 v41, v36
	v_lshlrev_b32_e32 v36, 16, v65
	v_and_b32_e32 v37, 0xffff0000, v65
	v_pk_mul_f16 v166, v159, v34 op_sel_hi:[0,1]
	v_pk_mul_f16 v167, v159, v35 op_sel_hi:[0,1]
	;; [unrolled: 1-line block ×4, first 2 shown]
	v_cvt_f16_f32_e32 v42, v37
	v_cvt_f16_f32_e32 v43, v36
	v_lshlrev_b32_e32 v36, 16, v66
	v_and_b32_e32 v37, 0xffff0000, v66
	scratch_store_dwordx4 off, v[164:167], off offset:64
	scratch_store_dwordx4 off, v[32:35], off offset:96
	v_cvt_f16_f32_e32 v64, v37
	v_cvt_f16_f32_e32 v65, v36
	v_lshlrev_b32_e32 v36, 16, v67
	v_and_b32_e32 v37, 0xffff0000, v67
	ds_read_u16 v159, v156
	ds_read_u16 v168, v156 offset:256
	scratch_load_dwordx4 v[44:47], off, off offset:32
	v_cvt_f16_f32_e32 v66, v37
	v_cvt_f16_f32_e32 v67, v36
	global_load_dwordx4 v[36:39], v[142:143], off offset:384
	v_pack_b32_f16 v41, v41, v40
	v_pack_b32_f16 v42, v43, v42
	;; [unrolled: 1-line block ×4, first 2 shown]
	s_waitcnt lgkmcnt(1)
	v_pk_fma_f16 v40, v159, v41, v48 op_sel_hi:[0,1,1]
	s_waitcnt lgkmcnt(0)
	v_pk_fma_f16 v64, v168, v41, v164 op_sel_hi:[0,1,1]
	v_pk_fma_f16 v41, v159, v42, v49 op_sel_hi:[0,1,1]
	;; [unrolled: 1-line block ×6, first 2 shown]
	scratch_store_dwordx4 off, v[40:43], off
	v_pk_fma_f16 v67, v168, v67, v167 op_sel_hi:[0,1,1]
	s_waitcnt vmcnt(13)
	v_lshlrev_b32_e32 v40, 16, v160
	v_and_b32_e32 v41, 0xffff0000, v160
	v_cvt_f16_f32_e32 v140, v41
	v_cvt_f16_f32_e32 v141, v40
	v_lshlrev_b32_e32 v40, 16, v161
	v_and_b32_e32 v41, 0xffff0000, v161
	v_cvt_f16_f32_e32 v142, v41
	v_cvt_f16_f32_e32 v143, v40
	v_lshlrev_b32_e32 v40, 16, v162
	v_and_b32_e32 v41, 0xffff0000, v162
	v_cvt_f16_f32_e32 v160, v41
	v_cvt_f16_f32_e32 v161, v40
	scratch_load_dwordx4 v[48:51], off, off offset:48
	scratch_load_dwordx4 v[40:43], off, off offset:112
	v_pack_b32_f16 v142, v143, v142
	scratch_store_dwordx4 off, v[64:67], off offset:64
	v_pack_b32_f16 v143, v161, v160
	s_waitcnt vmcnt(13)
	v_pk_fma_f16 v61, v159, v142, v61 op_sel_hi:[0,1,1]
	v_lshlrev_b32_e32 v64, 16, v163
	v_and_b32_e32 v65, 0xffff0000, v163
	v_cvt_f16_f32_e32 v160, v65
	v_cvt_f16_f32_e32 v161, v64
	v_lshl_add_u64 v[64:65], s[30:31], 0, v[120:121]
	v_pk_fma_f16 v57, v168, v142, v57 op_sel_hi:[0,1,1]
	s_waitcnt vmcnt(12)
	v_lshlrev_b32_e32 v142, 16, v52
	v_and_b32_e32 v52, 0xffff0000, v52
	v_pack_b32_f16 v162, v141, v140
	v_lshl_add_u64 v[140:141], v[64:65], 0, v[106:107]
	v_cvt_f16_f32_e32 v52, v52
	v_cvt_f16_f32_e32 v142, v142
	global_load_dwordx4 v[64:67], v[140:141], off
	v_pack_b32_f16 v160, v161, v160
	v_pk_fma_f16 v60, v159, v162, v60 op_sel_hi:[0,1,1]
	v_pack_b32_f16 v142, v142, v52
	v_lshlrev_b32_e32 v52, 16, v53
	v_and_b32_e32 v53, 0xffff0000, v53
	v_cvt_f16_f32_e32 v53, v53
	v_cvt_f16_f32_e32 v52, v52
	v_pk_fma_f16 v56, v168, v162, v56 op_sel_hi:[0,1,1]
	v_pk_fma_f16 v62, v159, v143, v62 op_sel_hi:[0,1,1]
	;; [unrolled: 1-line block ×5, first 2 shown]
	scratch_store_dwordx4 off, v[60:63], off offset:16
	scratch_store_dwordx4 off, v[56:59], off offset:80
	v_lshlrev_b32_e32 v143, 16, v54
	v_and_b32_e32 v54, 0xffff0000, v54
	scratch_load_dwordx4 v[60:63], off, off
	scratch_load_dwordx4 v[56:59], off, off offset:64
	v_cvt_f16_f32_e32 v160, v54
	v_lshlrev_b32_e32 v54, 16, v55
	v_and_b32_e32 v55, 0xffff0000, v55
	v_cvt_f16_f32_e32 v161, v55
	v_cvt_f16_f32_e32 v162, v54
	v_pack_b32_f16 v163, v52, v53
	global_load_dwordx4 v[52:55], v[140:141], off offset:128
	v_cvt_f16_f32_e32 v143, v143
	v_pk_fma_f16 v32, v168, v142, v32 op_sel_hi:[0,1,1]
	v_pk_fma_f16 v33, v168, v163, v33 op_sel_hi:[0,1,1]
	v_pack_b32_f16 v143, v143, v160
	v_pack_b32_f16 v160, v162, v161
	v_pk_fma_f16 v34, v168, v143, v34 op_sel_hi:[0,1,1]
	v_pk_fma_f16 v35, v168, v160, v35 op_sel_hi:[0,1,1]
	s_waitcnt vmcnt(11)
	v_pk_fma_f16 v44, v159, v142, v44 op_sel_hi:[0,1,1]
	scratch_store_dwordx4 off, v[32:35], off offset:96
	v_pk_fma_f16 v45, v159, v163, v45 op_sel_hi:[0,1,1]
	s_waitcnt vmcnt(11)
	v_lshlrev_b32_e32 v142, 16, v36
	v_and_b32_e32 v36, 0xffff0000, v36
	v_cvt_f16_f32_e32 v36, v36
	v_cvt_f16_f32_e32 v142, v142
	v_lshlrev_b32_e32 v32, 16, v37
	v_and_b32_e32 v33, 0xffff0000, v37
	v_cvt_f16_f32_e32 v37, v32
	v_pack_b32_f16 v142, v142, v36
	v_cvt_f16_f32_e32 v36, v33
	v_pk_fma_f16 v46, v159, v143, v46 op_sel_hi:[0,1,1]
	v_pk_fma_f16 v47, v159, v160, v47 op_sel_hi:[0,1,1]
	scratch_store_dwordx4 off, v[44:47], off offset:32
	v_lshlrev_b32_e32 v32, 16, v38
	v_and_b32_e32 v33, 0xffff0000, v38
	v_lshlrev_b32_e32 v38, 16, v39
	v_and_b32_e32 v39, 0xffff0000, v39
	v_cvt_f16_f32_e32 v143, v33
	v_cvt_f16_f32_e32 v160, v32
	scratch_load_dwordx4 v[32:35], off, off offset:16
	scratch_load_dwordx4 v[44:47], off, off offset:80
	v_cvt_f16_f32_e32 v161, v39
	v_cvt_f16_f32_e32 v162, v38
	v_pack_b32_f16 v163, v37, v36
	global_load_dwordx4 v[36:39], v[140:141], off offset:256
	v_pack_b32_f16 v143, v160, v143
	v_pack_b32_f16 v160, v162, v161
	s_waitcnt vmcnt(13)
	v_pk_fma_f16 v48, v159, v142, v48 op_sel_hi:[0,1,1]
	s_waitcnt vmcnt(12)
	v_pk_fma_f16 v40, v168, v142, v40 op_sel_hi:[0,1,1]
	v_pk_fma_f16 v49, v159, v163, v49 op_sel_hi:[0,1,1]
	v_pk_fma_f16 v41, v168, v163, v41 op_sel_hi:[0,1,1]
	v_pk_fma_f16 v50, v159, v143, v50 op_sel_hi:[0,1,1]
	v_pk_fma_f16 v42, v168, v143, v42 op_sel_hi:[0,1,1]
	v_pk_fma_f16 v51, v159, v160, v51 op_sel_hi:[0,1,1]
	v_pk_fma_f16 v43, v168, v160, v43 op_sel_hi:[0,1,1]
	scratch_store_dwordx4 off, v[48:51], off offset:48
	scratch_store_dwordx4 off, v[40:43], off offset:112
	ds_read_u16 v159, v156 offset:8
	ds_read_u16 v172, v157 offset:8
	scratch_load_dwordx4 v[160:163], off, off offset:32
	scratch_load_dwordx4 v[164:167], off, off offset:96
	s_waitcnt vmcnt(14)
	v_lshlrev_b32_e32 v40, 16, v64
	v_and_b32_e32 v41, 0xffff0000, v64
	v_lshlrev_b32_e32 v42, 16, v65
	v_and_b32_e32 v43, 0xffff0000, v65
	;; [unrolled: 2-line block ×4, first 2 shown]
	global_load_dwordx4 v[64:67], v[140:141], off offset:384
	v_cvt_f16_f32_e32 v41, v41
	v_cvt_f16_f32_e32 v40, v40
	;; [unrolled: 1-line block ×8, first 2 shown]
	v_pack_b32_f16 v41, v40, v41
	v_pack_b32_f16 v42, v42, v43
	;; [unrolled: 1-line block ×4, first 2 shown]
	s_waitcnt vmcnt(12) lgkmcnt(1)
	v_pk_fma_f16 v40, v159, v41, v60 op_sel_hi:[0,1,1]
	s_waitcnt vmcnt(11) lgkmcnt(0)
	v_pk_fma_f16 v48, v172, v41, v56 op_sel_hi:[0,1,1]
	v_pk_fma_f16 v41, v159, v42, v61 op_sel_hi:[0,1,1]
	;; [unrolled: 1-line block ×6, first 2 shown]
	scratch_store_dwordx4 off, v[40:43], off
	v_pk_fma_f16 v51, v172, v51, v59 op_sel_hi:[0,1,1]
	scratch_load_dwordx4 v[140:143], off, off offset:48
	scratch_load_dwordx4 v[168:171], off, off offset:112
	s_waitcnt vmcnt(13)
	v_lshlrev_b32_e32 v40, 16, v52
	v_and_b32_e32 v41, 0xffff0000, v52
	v_cvt_f16_f32_e32 v41, v41
	v_cvt_f16_f32_e32 v40, v40
	v_lshlrev_b32_e32 v42, 16, v53
	v_and_b32_e32 v43, 0xffff0000, v53
	v_lshlrev_b32_e32 v52, 16, v54
	v_and_b32_e32 v53, 0xffff0000, v54
	v_cvt_f16_f32_e32 v53, v53
	v_cvt_f16_f32_e32 v52, v52
	;; [unrolled: 1-line block ×4, first 2 shown]
	scratch_store_dwordx4 off, v[48:51], off offset:64
	s_waitcnt vmcnt(4)
	v_lshlrev_b32_e32 v56, 16, v64
	v_pack_b32_f16 v48, v40, v41
	v_lshlrev_b32_e32 v40, 16, v55
	v_and_b32_e32 v41, 0xffff0000, v55
	v_pack_b32_f16 v50, v52, v53
	v_cvt_f16_f32_e32 v51, v41
	v_cvt_f16_f32_e32 v52, v40
	v_lshl_add_u64 v[40:41], s[30:31], 0, v[122:123]
	v_lshl_add_u64 v[60:61], v[40:41], 0, v[106:107]
	v_pack_b32_f16 v49, v42, v43
	global_load_dwordx4 v[40:43], v[60:61], off
	v_pack_b32_f16 v51, v52, v51
	v_pk_fma_f16 v32, v159, v48, v32 op_sel_hi:[0,1,1]
	v_pk_fma_f16 v44, v172, v48, v44 op_sel_hi:[0,1,1]
	;; [unrolled: 1-line block ×5, first 2 shown]
	v_lshlrev_b32_e32 v48, 16, v36
	v_and_b32_e32 v36, 0xffff0000, v36
	v_cvt_f16_f32_e32 v36, v36
	v_cvt_f16_f32_e32 v48, v48
	scratch_store_dwordx4 off, v[32:35], off offset:16
	v_pk_fma_f16 v45, v172, v49, v45 op_sel_hi:[0,1,1]
	v_pk_fma_f16 v46, v172, v50, v46 op_sel_hi:[0,1,1]
	v_lshlrev_b32_e32 v32, 16, v37
	v_and_b32_e32 v33, 0xffff0000, v37
	v_cvt_f16_f32_e32 v33, v33
	v_cvt_f16_f32_e32 v32, v32
	v_pk_fma_f16 v47, v172, v51, v47 op_sel_hi:[0,1,1]
	v_lshlrev_b32_e32 v34, 16, v38
	v_and_b32_e32 v35, 0xffff0000, v38
	scratch_store_dwordx4 off, v[44:47], off offset:80
	v_cvt_f16_f32_e32 v37, v34
	v_lshlrev_b32_e32 v34, 16, v39
	v_pack_b32_f16 v44, v48, v36
	v_cvt_f16_f32_e32 v36, v35
	v_and_b32_e32 v35, 0xffff0000, v39
	scratch_load_dwordx4 v[52:55], off, off
	scratch_load_dwordx4 v[48:51], off, off offset:64
	v_cvt_f16_f32_e32 v38, v35
	v_cvt_f16_f32_e32 v39, v34
	v_pack_b32_f16 v45, v32, v33
	global_load_dwordx4 v[32:35], v[60:61], off offset:128
	v_pack_b32_f16 v46, v37, v36
	v_pack_b32_f16 v47, v39, v38
	v_pk_fma_f16 v36, v159, v44, v160 op_sel_hi:[0,1,1]
	v_pk_fma_f16 v37, v159, v45, v161 op_sel_hi:[0,1,1]
	;; [unrolled: 1-line block ×4, first 2 shown]
	v_and_b32_e32 v57, 0xffff0000, v64
	scratch_store_dwordx4 off, v[36:39], off offset:32
	v_cvt_f16_f32_e32 v57, v57
	v_cvt_f16_f32_e32 v56, v56
	v_lshlrev_b32_e32 v36, 16, v65
	v_and_b32_e32 v37, 0xffff0000, v65
	v_cvt_f16_f32_e32 v37, v37
	v_cvt_f16_f32_e32 v36, v36
	v_pk_fma_f16 v44, v172, v44, v164 op_sel_hi:[0,1,1]
	v_pk_fma_f16 v45, v172, v45, v165 op_sel_hi:[0,1,1]
	;; [unrolled: 1-line block ×4, first 2 shown]
	v_lshlrev_b32_e32 v38, 16, v66
	v_and_b32_e32 v39, 0xffff0000, v66
	scratch_store_dwordx4 off, v[44:47], off offset:96
	v_cvt_f16_f32_e32 v62, v39
	v_cvt_f16_f32_e32 v64, v38
	v_lshlrev_b32_e32 v38, 16, v67
	v_and_b32_e32 v39, 0xffff0000, v67
	v_pack_b32_f16 v63, v56, v57
	scratch_load_dwordx4 v[56:59], off, off offset:16
	scratch_load_dwordx4 v[44:47], off, off offset:80
	v_cvt_f16_f32_e32 v65, v39
	v_cvt_f16_f32_e32 v66, v38
	v_pack_b32_f16 v67, v36, v37
	global_load_dwordx4 v[36:39], v[60:61], off offset:256
	v_pack_b32_f16 v160, v64, v62
	v_pack_b32_f16 v66, v66, v65
	s_waitcnt vmcnt(13)
	v_pk_fma_f16 v62, v159, v63, v140 op_sel_hi:[0,1,1]
	s_waitcnt vmcnt(12)
	v_pk_fma_f16 v140, v172, v63, v168 op_sel_hi:[0,1,1]
	v_pk_fma_f16 v63, v159, v67, v141 op_sel_hi:[0,1,1]
	v_pk_fma_f16 v64, v159, v160, v142 op_sel_hi:[0,1,1]
	v_pk_fma_f16 v65, v159, v66, v143 op_sel_hi:[0,1,1]
	v_pk_fma_f16 v141, v172, v67, v169 op_sel_hi:[0,1,1]
	v_pk_fma_f16 v142, v172, v160, v170 op_sel_hi:[0,1,1]
	scratch_store_dwordx4 off, v[62:65], off offset:48
	v_pk_fma_f16 v143, v172, v66, v171 op_sel_hi:[0,1,1]
	scratch_store_dwordx4 off, v[140:143], off offset:112
	ds_read_u16 v66, v156 offset:16
	ds_read_u16 v67, v157 offset:16
	s_waitcnt vmcnt(12)
	v_lshlrev_b32_e32 v62, 16, v40
	v_lshlrev_b32_e32 v160, 16, v42
	v_cvt_f16_f32_e32 v159, v62
	v_lshlrev_b32_e32 v62, 16, v41
	v_cvt_f16_f32_e32 v165, v160
	;; [unrolled: 2-line block ×3, first 2 shown]
	scratch_load_dwordx4 v[62:65], off, off offset:32
	scratch_load_dwordx4 v[140:143], off, off offset:96
	v_cvt_f16_f32_e32 v166, v160
	global_load_dwordx4 v[160:163], v[60:61], off offset:384
	v_and_b32_e32 v40, 0xffff0000, v40
	v_and_b32_e32 v41, 0xffff0000, v41
	;; [unrolled: 1-line block ×4, first 2 shown]
	v_cvt_f16_f32_e32 v40, v40
	v_cvt_f16_f32_e32 v41, v41
	;; [unrolled: 1-line block ×4, first 2 shown]
	v_pack_b32_f16 v60, v159, v40
	v_pack_b32_f16 v61, v164, v41
	;; [unrolled: 1-line block ×4, first 2 shown]
	s_waitcnt vmcnt(12) lgkmcnt(1)
	v_pk_fma_f16 v40, v66, v60, v52 op_sel_hi:[0,1,1]
	v_pk_fma_f16 v41, v66, v61, v53 op_sel_hi:[0,1,1]
	v_pk_fma_f16 v42, v66, v159, v54 op_sel_hi:[0,1,1]
	v_pk_fma_f16 v43, v66, v164, v55 op_sel_hi:[0,1,1]
	scratch_store_dwordx4 off, v[40:43], off
	s_waitcnt vmcnt(12) lgkmcnt(0)
	v_pk_fma_f16 v48, v67, v60, v48 op_sel_hi:[0,1,1]
	v_pk_fma_f16 v49, v67, v61, v49 op_sel_hi:[0,1,1]
	s_waitcnt vmcnt(11)
	v_lshlrev_b32_e32 v40, 16, v32
	v_and_b32_e32 v32, 0xffff0000, v32
	v_lshlrev_b32_e32 v41, 16, v33
	v_and_b32_e32 v33, 0xffff0000, v33
	v_cvt_f16_f32_e32 v32, v32
	v_cvt_f16_f32_e32 v40, v40
	;; [unrolled: 1-line block ×4, first 2 shown]
	v_lshlrev_b32_e32 v42, 16, v34
	v_and_b32_e32 v34, 0xffff0000, v34
	v_cvt_f16_f32_e32 v34, v34
	v_cvt_f16_f32_e32 v42, v42
	v_pk_fma_f16 v50, v67, v159, v50 op_sel_hi:[0,1,1]
	v_pk_fma_f16 v51, v67, v164, v51 op_sel_hi:[0,1,1]
	scratch_load_dwordx4 v[164:167], off, off offset:48
	scratch_load_dwordx4 v[168:171], off, off offset:112
	s_nop 0
	scratch_store_dwordx4 off, v[48:51], off offset:64
	s_nop 1
	v_pack_b32_f16 v48, v40, v32
	v_pack_b32_f16 v49, v41, v33
	v_lshlrev_b32_e32 v32, 16, v35
	v_and_b32_e32 v33, 0xffff0000, v35
	v_pack_b32_f16 v50, v42, v34
	v_cvt_f16_f32_e32 v34, v33
	v_cvt_f16_f32_e32 v35, v32
	v_lshl_add_u64 v[32:33], s[30:31], 0, v[124:125]
	v_lshl_add_u64 v[60:61], v[32:33], 0, v[106:107]
	global_load_dwordx4 v[40:43], v[60:61], off
	v_pack_b32_f16 v51, v35, v34
	s_waitcnt vmcnt(12)
	v_pk_fma_f16 v32, v66, v48, v56 op_sel_hi:[0,1,1]
	s_waitcnt vmcnt(11)
	v_pk_fma_f16 v44, v67, v48, v44 op_sel_hi:[0,1,1]
	v_pk_fma_f16 v33, v66, v49, v57 op_sel_hi:[0,1,1]
	;; [unrolled: 1-line block ×4, first 2 shown]
	s_waitcnt vmcnt(10)
	v_lshlrev_b32_e32 v48, 16, v36
	v_and_b32_e32 v36, 0xffff0000, v36
	v_cvt_f16_f32_e32 v36, v36
	v_cvt_f16_f32_e32 v48, v48
	scratch_store_dwordx4 off, v[32:35], off offset:16
	v_pk_fma_f16 v45, v67, v49, v45 op_sel_hi:[0,1,1]
	v_pk_fma_f16 v46, v67, v50, v46 op_sel_hi:[0,1,1]
	v_lshlrev_b32_e32 v32, 16, v37
	v_and_b32_e32 v33, 0xffff0000, v37
	v_cvt_f16_f32_e32 v33, v33
	v_cvt_f16_f32_e32 v32, v32
	v_pk_fma_f16 v47, v67, v51, v47 op_sel_hi:[0,1,1]
	v_lshlrev_b32_e32 v34, 16, v38
	v_and_b32_e32 v35, 0xffff0000, v38
	scratch_store_dwordx4 off, v[44:47], off offset:80
	v_cvt_f16_f32_e32 v37, v34
	v_lshlrev_b32_e32 v34, 16, v39
	v_pack_b32_f16 v44, v48, v36
	v_cvt_f16_f32_e32 v36, v35
	v_and_b32_e32 v35, 0xffff0000, v39
	scratch_load_dwordx4 v[52:55], off, off
	scratch_load_dwordx4 v[48:51], off, off offset:64
	v_cvt_f16_f32_e32 v38, v35
	v_cvt_f16_f32_e32 v39, v34
	v_pack_b32_f16 v45, v32, v33
	global_load_dwordx4 v[32:35], v[60:61], off offset:128
	v_pack_b32_f16 v46, v37, v36
	v_pack_b32_f16 v47, v39, v38
	s_waitcnt vmcnt(12)
	v_pk_fma_f16 v36, v66, v44, v62 op_sel_hi:[0,1,1]
	v_pk_fma_f16 v37, v66, v45, v63 op_sel_hi:[0,1,1]
	;; [unrolled: 1-line block ×4, first 2 shown]
	s_waitcnt vmcnt(10)
	v_lshlrev_b32_e32 v56, 16, v160
	v_and_b32_e32 v57, 0xffff0000, v160
	scratch_store_dwordx4 off, v[36:39], off offset:32
	v_cvt_f16_f32_e32 v57, v57
	v_cvt_f16_f32_e32 v56, v56
	v_lshlrev_b32_e32 v36, 16, v161
	v_and_b32_e32 v37, 0xffff0000, v161
	v_cvt_f16_f32_e32 v37, v37
	v_cvt_f16_f32_e32 v36, v36
	v_pk_fma_f16 v44, v67, v44, v140 op_sel_hi:[0,1,1]
	v_pk_fma_f16 v45, v67, v45, v141 op_sel_hi:[0,1,1]
	;; [unrolled: 1-line block ×4, first 2 shown]
	v_lshlrev_b32_e32 v38, 16, v162
	v_and_b32_e32 v39, 0xffff0000, v162
	scratch_store_dwordx4 off, v[44:47], off offset:96
	v_cvt_f16_f32_e32 v62, v39
	v_cvt_f16_f32_e32 v64, v38
	v_lshlrev_b32_e32 v38, 16, v163
	v_and_b32_e32 v39, 0xffff0000, v163
	v_pack_b32_f16 v63, v56, v57
	scratch_load_dwordx4 v[56:59], off, off offset:16
	scratch_load_dwordx4 v[44:47], off, off offset:80
	v_cvt_f16_f32_e32 v65, v39
	v_cvt_f16_f32_e32 v140, v38
	v_pack_b32_f16 v141, v36, v37
	global_load_dwordx4 v[36:39], v[60:61], off offset:256
	v_pack_b32_f16 v142, v64, v62
	v_pack_b32_f16 v143, v140, v65
	s_waitcnt vmcnt(13)
	v_pk_fma_f16 v62, v66, v63, v164 op_sel_hi:[0,1,1]
	s_waitcnt vmcnt(12)
	v_pk_fma_f16 v140, v67, v63, v168 op_sel_hi:[0,1,1]
	v_pk_fma_f16 v63, v66, v141, v165 op_sel_hi:[0,1,1]
	;; [unrolled: 1-line block ×6, first 2 shown]
	scratch_store_dwordx4 off, v[62:65], off offset:48
	v_pk_fma_f16 v143, v67, v143, v171 op_sel_hi:[0,1,1]
	scratch_store_dwordx4 off, v[140:143], off offset:112
	ds_read_u16 v66, v156 offset:24
	ds_read_u16 v67, v157 offset:24
	s_waitcnt vmcnt(12)
	v_lshlrev_b32_e32 v62, 16, v40
	v_lshlrev_b32_e32 v160, 16, v42
	v_cvt_f16_f32_e32 v159, v62
	v_lshlrev_b32_e32 v62, 16, v41
	v_cvt_f16_f32_e32 v165, v160
	v_lshlrev_b32_e32 v160, 16, v43
	v_and_b32_e32 v40, 0xffff0000, v40
	v_and_b32_e32 v41, 0xffff0000, v41
	v_cvt_f16_f32_e32 v164, v62
	v_and_b32_e32 v42, 0xffff0000, v42
	scratch_load_dwordx4 v[62:65], off, off offset:32
	scratch_load_dwordx4 v[140:143], off, off offset:96
	v_and_b32_e32 v43, 0xffff0000, v43
	v_cvt_f16_f32_e32 v166, v160
	global_load_dwordx4 v[160:163], v[60:61], off offset:384
	v_cvt_f16_f32_e32 v40, v40
	v_cvt_f16_f32_e32 v41, v41
	;; [unrolled: 1-line block ×4, first 2 shown]
	v_pack_b32_f16 v60, v159, v40
	v_pack_b32_f16 v61, v164, v41
	;; [unrolled: 1-line block ×4, first 2 shown]
	s_waitcnt vmcnt(12) lgkmcnt(1)
	v_pk_fma_f16 v40, v66, v60, v52 op_sel_hi:[0,1,1]
	v_pk_fma_f16 v41, v66, v61, v53 op_sel_hi:[0,1,1]
	v_pk_fma_f16 v42, v66, v159, v54 op_sel_hi:[0,1,1]
	v_pk_fma_f16 v43, v66, v164, v55 op_sel_hi:[0,1,1]
	scratch_store_dwordx4 off, v[40:43], off
	s_waitcnt vmcnt(12) lgkmcnt(0)
	v_pk_fma_f16 v48, v67, v60, v48 op_sel_hi:[0,1,1]
	v_pk_fma_f16 v49, v67, v61, v49 op_sel_hi:[0,1,1]
	s_waitcnt vmcnt(11)
	v_lshlrev_b32_e32 v40, 16, v32
	v_and_b32_e32 v32, 0xffff0000, v32
	v_lshlrev_b32_e32 v41, 16, v33
	v_and_b32_e32 v33, 0xffff0000, v33
	v_cvt_f16_f32_e32 v32, v32
	v_cvt_f16_f32_e32 v40, v40
	;; [unrolled: 1-line block ×4, first 2 shown]
	v_lshlrev_b32_e32 v42, 16, v34
	v_and_b32_e32 v34, 0xffff0000, v34
	v_cvt_f16_f32_e32 v34, v34
	v_cvt_f16_f32_e32 v42, v42
	v_pk_fma_f16 v50, v67, v159, v50 op_sel_hi:[0,1,1]
	v_pk_fma_f16 v51, v67, v164, v51 op_sel_hi:[0,1,1]
	scratch_load_dwordx4 v[164:167], off, off offset:48
	scratch_load_dwordx4 v[168:171], off, off offset:112
	s_nop 0
	scratch_store_dwordx4 off, v[48:51], off offset:64
	s_nop 1
	v_pack_b32_f16 v48, v40, v32
	v_pack_b32_f16 v49, v41, v33
	v_lshlrev_b32_e32 v32, 16, v35
	v_and_b32_e32 v33, 0xffff0000, v35
	v_pack_b32_f16 v50, v42, v34
	v_cvt_f16_f32_e32 v34, v33
	v_cvt_f16_f32_e32 v35, v32
	v_lshl_add_u64 v[32:33], s[30:31], 0, v[126:127]
	v_lshl_add_u64 v[60:61], v[32:33], 0, v[106:107]
	global_load_dwordx4 v[40:43], v[60:61], off
	v_pack_b32_f16 v51, v35, v34
	s_waitcnt vmcnt(12)
	v_pk_fma_f16 v32, v66, v48, v56 op_sel_hi:[0,1,1]
	s_waitcnt vmcnt(11)
	v_pk_fma_f16 v44, v67, v48, v44 op_sel_hi:[0,1,1]
	v_pk_fma_f16 v33, v66, v49, v57 op_sel_hi:[0,1,1]
	;; [unrolled: 1-line block ×4, first 2 shown]
	s_waitcnt vmcnt(10)
	v_lshlrev_b32_e32 v48, 16, v36
	v_and_b32_e32 v36, 0xffff0000, v36
	v_cvt_f16_f32_e32 v36, v36
	v_cvt_f16_f32_e32 v48, v48
	scratch_store_dwordx4 off, v[32:35], off offset:16
	v_pk_fma_f16 v45, v67, v49, v45 op_sel_hi:[0,1,1]
	v_pk_fma_f16 v46, v67, v50, v46 op_sel_hi:[0,1,1]
	v_lshlrev_b32_e32 v32, 16, v37
	v_and_b32_e32 v33, 0xffff0000, v37
	v_cvt_f16_f32_e32 v33, v33
	v_cvt_f16_f32_e32 v32, v32
	v_pk_fma_f16 v47, v67, v51, v47 op_sel_hi:[0,1,1]
	v_lshlrev_b32_e32 v34, 16, v38
	v_and_b32_e32 v35, 0xffff0000, v38
	scratch_store_dwordx4 off, v[44:47], off offset:80
	v_cvt_f16_f32_e32 v37, v34
	v_lshlrev_b32_e32 v34, 16, v39
	v_pack_b32_f16 v44, v48, v36
	v_cvt_f16_f32_e32 v36, v35
	v_and_b32_e32 v35, 0xffff0000, v39
	scratch_load_dwordx4 v[52:55], off, off
	scratch_load_dwordx4 v[48:51], off, off offset:64
	v_cvt_f16_f32_e32 v38, v35
	v_cvt_f16_f32_e32 v39, v34
	v_pack_b32_f16 v45, v32, v33
	global_load_dwordx4 v[32:35], v[60:61], off offset:128
	v_pack_b32_f16 v46, v37, v36
	v_pack_b32_f16 v47, v39, v38
	s_waitcnt vmcnt(12)
	v_pk_fma_f16 v36, v66, v44, v62 op_sel_hi:[0,1,1]
	v_pk_fma_f16 v37, v66, v45, v63 op_sel_hi:[0,1,1]
	;; [unrolled: 1-line block ×4, first 2 shown]
	s_waitcnt vmcnt(10)
	v_lshlrev_b32_e32 v56, 16, v160
	v_and_b32_e32 v57, 0xffff0000, v160
	scratch_store_dwordx4 off, v[36:39], off offset:32
	v_cvt_f16_f32_e32 v57, v57
	v_cvt_f16_f32_e32 v56, v56
	v_lshlrev_b32_e32 v36, 16, v161
	v_and_b32_e32 v37, 0xffff0000, v161
	v_cvt_f16_f32_e32 v37, v37
	v_cvt_f16_f32_e32 v36, v36
	v_pk_fma_f16 v44, v67, v44, v140 op_sel_hi:[0,1,1]
	v_pk_fma_f16 v45, v67, v45, v141 op_sel_hi:[0,1,1]
	;; [unrolled: 1-line block ×4, first 2 shown]
	v_lshlrev_b32_e32 v38, 16, v162
	v_and_b32_e32 v39, 0xffff0000, v162
	scratch_store_dwordx4 off, v[44:47], off offset:96
	v_cvt_f16_f32_e32 v62, v39
	v_cvt_f16_f32_e32 v64, v38
	v_lshlrev_b32_e32 v38, 16, v163
	v_and_b32_e32 v39, 0xffff0000, v163
	v_pack_b32_f16 v63, v56, v57
	scratch_load_dwordx4 v[56:59], off, off offset:16
	scratch_load_dwordx4 v[44:47], off, off offset:80
	v_cvt_f16_f32_e32 v65, v39
	v_cvt_f16_f32_e32 v140, v38
	v_pack_b32_f16 v141, v36, v37
	global_load_dwordx4 v[36:39], v[60:61], off offset:256
	v_pack_b32_f16 v142, v64, v62
	v_pack_b32_f16 v143, v140, v65
	s_waitcnt vmcnt(13)
	v_pk_fma_f16 v62, v66, v63, v164 op_sel_hi:[0,1,1]
	s_waitcnt vmcnt(12)
	v_pk_fma_f16 v140, v67, v63, v168 op_sel_hi:[0,1,1]
	v_pk_fma_f16 v63, v66, v141, v165 op_sel_hi:[0,1,1]
	;; [unrolled: 1-line block ×6, first 2 shown]
	scratch_store_dwordx4 off, v[62:65], off offset:48
	v_pk_fma_f16 v143, v67, v143, v171 op_sel_hi:[0,1,1]
	scratch_store_dwordx4 off, v[140:143], off offset:112
	ds_read_u16 v66, v156 offset:32
	ds_read_u16 v67, v156 offset:288
	s_waitcnt vmcnt(12)
	v_lshlrev_b32_e32 v62, 16, v40
	v_lshlrev_b32_e32 v160, 16, v42
	v_cvt_f16_f32_e32 v159, v62
	v_lshlrev_b32_e32 v62, 16, v41
	v_cvt_f16_f32_e32 v165, v160
	;; [unrolled: 2-line block ×3, first 2 shown]
	scratch_load_dwordx4 v[62:65], off, off offset:32
	scratch_load_dwordx4 v[140:143], off, off offset:96
	v_cvt_f16_f32_e32 v166, v160
	global_load_dwordx4 v[160:163], v[60:61], off offset:384
	v_and_b32_e32 v40, 0xffff0000, v40
	v_and_b32_e32 v41, 0xffff0000, v41
	v_and_b32_e32 v42, 0xffff0000, v42
	v_and_b32_e32 v43, 0xffff0000, v43
	v_cvt_f16_f32_e32 v40, v40
	v_cvt_f16_f32_e32 v41, v41
	;; [unrolled: 1-line block ×4, first 2 shown]
	v_pack_b32_f16 v60, v159, v40
	v_pack_b32_f16 v61, v164, v41
	;; [unrolled: 1-line block ×4, first 2 shown]
	s_waitcnt vmcnt(12) lgkmcnt(1)
	v_pk_fma_f16 v40, v66, v60, v52 op_sel_hi:[0,1,1]
	v_pk_fma_f16 v41, v66, v61, v53 op_sel_hi:[0,1,1]
	;; [unrolled: 1-line block ×4, first 2 shown]
	scratch_store_dwordx4 off, v[40:43], off
	s_waitcnt vmcnt(12) lgkmcnt(0)
	v_pk_fma_f16 v48, v67, v60, v48 op_sel_hi:[0,1,1]
	v_pk_fma_f16 v49, v67, v61, v49 op_sel_hi:[0,1,1]
	s_waitcnt vmcnt(11)
	v_lshlrev_b32_e32 v40, 16, v32
	v_and_b32_e32 v32, 0xffff0000, v32
	v_lshlrev_b32_e32 v41, 16, v33
	v_and_b32_e32 v33, 0xffff0000, v33
	v_cvt_f16_f32_e32 v32, v32
	v_cvt_f16_f32_e32 v40, v40
	v_cvt_f16_f32_e32 v33, v33
	v_cvt_f16_f32_e32 v41, v41
	v_lshlrev_b32_e32 v42, 16, v34
	v_and_b32_e32 v34, 0xffff0000, v34
	v_cvt_f16_f32_e32 v34, v34
	v_cvt_f16_f32_e32 v42, v42
	v_pk_fma_f16 v50, v67, v159, v50 op_sel_hi:[0,1,1]
	v_pk_fma_f16 v51, v67, v164, v51 op_sel_hi:[0,1,1]
	scratch_load_dwordx4 v[164:167], off, off offset:48
	scratch_load_dwordx4 v[168:171], off, off offset:112
	s_nop 0
	scratch_store_dwordx4 off, v[48:51], off offset:64
	s_nop 1
	v_pack_b32_f16 v48, v40, v32
	v_pack_b32_f16 v49, v41, v33
	v_lshlrev_b32_e32 v32, 16, v35
	v_and_b32_e32 v33, 0xffff0000, v35
	v_pack_b32_f16 v50, v42, v34
	v_cvt_f16_f32_e32 v34, v33
	v_cvt_f16_f32_e32 v35, v32
	v_lshl_add_u64 v[32:33], s[30:31], 0, v[128:129]
	v_lshl_add_u64 v[60:61], v[32:33], 0, v[106:107]
	global_load_dwordx4 v[40:43], v[60:61], off
	v_pack_b32_f16 v51, v35, v34
	s_waitcnt vmcnt(12)
	v_pk_fma_f16 v32, v66, v48, v56 op_sel_hi:[0,1,1]
	s_waitcnt vmcnt(11)
	v_pk_fma_f16 v44, v67, v48, v44 op_sel_hi:[0,1,1]
	v_pk_fma_f16 v33, v66, v49, v57 op_sel_hi:[0,1,1]
	;; [unrolled: 1-line block ×4, first 2 shown]
	s_waitcnt vmcnt(10)
	v_lshlrev_b32_e32 v48, 16, v36
	v_and_b32_e32 v36, 0xffff0000, v36
	v_cvt_f16_f32_e32 v36, v36
	v_cvt_f16_f32_e32 v48, v48
	scratch_store_dwordx4 off, v[32:35], off offset:16
	v_pk_fma_f16 v45, v67, v49, v45 op_sel_hi:[0,1,1]
	v_pk_fma_f16 v46, v67, v50, v46 op_sel_hi:[0,1,1]
	v_lshlrev_b32_e32 v32, 16, v37
	v_and_b32_e32 v33, 0xffff0000, v37
	v_cvt_f16_f32_e32 v33, v33
	v_cvt_f16_f32_e32 v32, v32
	v_pk_fma_f16 v47, v67, v51, v47 op_sel_hi:[0,1,1]
	v_lshlrev_b32_e32 v34, 16, v38
	v_and_b32_e32 v35, 0xffff0000, v38
	scratch_store_dwordx4 off, v[44:47], off offset:80
	v_cvt_f16_f32_e32 v37, v34
	v_lshlrev_b32_e32 v34, 16, v39
	v_pack_b32_f16 v44, v48, v36
	v_cvt_f16_f32_e32 v36, v35
	v_and_b32_e32 v35, 0xffff0000, v39
	scratch_load_dwordx4 v[52:55], off, off
	scratch_load_dwordx4 v[48:51], off, off offset:64
	v_cvt_f16_f32_e32 v38, v35
	v_cvt_f16_f32_e32 v39, v34
	v_pack_b32_f16 v45, v32, v33
	global_load_dwordx4 v[32:35], v[60:61], off offset:128
	v_pack_b32_f16 v46, v37, v36
	v_pack_b32_f16 v47, v39, v38
	s_waitcnt vmcnt(12)
	v_pk_fma_f16 v36, v66, v44, v62 op_sel_hi:[0,1,1]
	v_pk_fma_f16 v37, v66, v45, v63 op_sel_hi:[0,1,1]
	;; [unrolled: 1-line block ×4, first 2 shown]
	s_waitcnt vmcnt(10)
	v_lshlrev_b32_e32 v56, 16, v160
	v_and_b32_e32 v57, 0xffff0000, v160
	scratch_store_dwordx4 off, v[36:39], off offset:32
	v_cvt_f16_f32_e32 v57, v57
	v_cvt_f16_f32_e32 v56, v56
	v_lshlrev_b32_e32 v36, 16, v161
	v_and_b32_e32 v37, 0xffff0000, v161
	v_cvt_f16_f32_e32 v37, v37
	v_cvt_f16_f32_e32 v36, v36
	v_pk_fma_f16 v44, v67, v44, v140 op_sel_hi:[0,1,1]
	v_pk_fma_f16 v45, v67, v45, v141 op_sel_hi:[0,1,1]
	;; [unrolled: 1-line block ×4, first 2 shown]
	v_lshlrev_b32_e32 v38, 16, v162
	v_and_b32_e32 v39, 0xffff0000, v162
	scratch_store_dwordx4 off, v[44:47], off offset:96
	v_cvt_f16_f32_e32 v62, v39
	v_cvt_f16_f32_e32 v64, v38
	v_lshlrev_b32_e32 v38, 16, v163
	v_and_b32_e32 v39, 0xffff0000, v163
	v_pack_b32_f16 v63, v56, v57
	scratch_load_dwordx4 v[56:59], off, off offset:16
	scratch_load_dwordx4 v[44:47], off, off offset:80
	v_cvt_f16_f32_e32 v65, v39
	v_cvt_f16_f32_e32 v140, v38
	v_pack_b32_f16 v141, v36, v37
	global_load_dwordx4 v[36:39], v[60:61], off offset:256
	v_pack_b32_f16 v142, v64, v62
	v_pack_b32_f16 v143, v140, v65
	s_waitcnt vmcnt(13)
	v_pk_fma_f16 v62, v66, v63, v164 op_sel_hi:[0,1,1]
	s_waitcnt vmcnt(12)
	v_pk_fma_f16 v140, v67, v63, v168 op_sel_hi:[0,1,1]
	v_pk_fma_f16 v63, v66, v141, v165 op_sel_hi:[0,1,1]
	;; [unrolled: 1-line block ×6, first 2 shown]
	scratch_store_dwordx4 off, v[62:65], off offset:48
	v_pk_fma_f16 v143, v67, v143, v171 op_sel_hi:[0,1,1]
	scratch_store_dwordx4 off, v[140:143], off offset:112
	ds_read_u16 v66, v156 offset:40
	ds_read_u16 v67, v157 offset:40
	s_waitcnt vmcnt(12)
	v_lshlrev_b32_e32 v62, 16, v40
	v_lshlrev_b32_e32 v160, 16, v42
	v_cvt_f16_f32_e32 v159, v62
	v_lshlrev_b32_e32 v62, 16, v41
	v_cvt_f16_f32_e32 v165, v160
	;; [unrolled: 2-line block ×3, first 2 shown]
	scratch_load_dwordx4 v[62:65], off, off offset:32
	scratch_load_dwordx4 v[140:143], off, off offset:96
	v_cvt_f16_f32_e32 v166, v160
	global_load_dwordx4 v[160:163], v[60:61], off offset:384
	v_and_b32_e32 v40, 0xffff0000, v40
	v_and_b32_e32 v41, 0xffff0000, v41
	;; [unrolled: 1-line block ×4, first 2 shown]
	v_cvt_f16_f32_e32 v40, v40
	v_cvt_f16_f32_e32 v41, v41
	;; [unrolled: 1-line block ×4, first 2 shown]
	v_pack_b32_f16 v60, v159, v40
	v_pack_b32_f16 v61, v164, v41
	;; [unrolled: 1-line block ×4, first 2 shown]
	s_waitcnt vmcnt(12) lgkmcnt(1)
	v_pk_fma_f16 v40, v66, v60, v52 op_sel_hi:[0,1,1]
	v_pk_fma_f16 v41, v66, v61, v53 op_sel_hi:[0,1,1]
	;; [unrolled: 1-line block ×4, first 2 shown]
	scratch_store_dwordx4 off, v[40:43], off
	s_waitcnt vmcnt(12) lgkmcnt(0)
	v_pk_fma_f16 v48, v67, v60, v48 op_sel_hi:[0,1,1]
	v_pk_fma_f16 v49, v67, v61, v49 op_sel_hi:[0,1,1]
	s_waitcnt vmcnt(11)
	v_lshlrev_b32_e32 v40, 16, v32
	v_and_b32_e32 v32, 0xffff0000, v32
	v_lshlrev_b32_e32 v41, 16, v33
	v_and_b32_e32 v33, 0xffff0000, v33
	v_cvt_f16_f32_e32 v32, v32
	v_cvt_f16_f32_e32 v40, v40
	;; [unrolled: 1-line block ×4, first 2 shown]
	v_lshlrev_b32_e32 v42, 16, v34
	v_and_b32_e32 v34, 0xffff0000, v34
	v_cvt_f16_f32_e32 v34, v34
	v_cvt_f16_f32_e32 v42, v42
	v_pk_fma_f16 v50, v67, v159, v50 op_sel_hi:[0,1,1]
	v_pk_fma_f16 v51, v67, v164, v51 op_sel_hi:[0,1,1]
	scratch_load_dwordx4 v[164:167], off, off offset:48
	scratch_load_dwordx4 v[168:171], off, off offset:112
	s_nop 0
	scratch_store_dwordx4 off, v[48:51], off offset:64
	s_nop 1
	v_pack_b32_f16 v48, v40, v32
	v_pack_b32_f16 v49, v41, v33
	v_lshlrev_b32_e32 v32, 16, v35
	v_and_b32_e32 v33, 0xffff0000, v35
	v_pack_b32_f16 v50, v42, v34
	v_cvt_f16_f32_e32 v34, v33
	v_cvt_f16_f32_e32 v35, v32
	v_lshl_add_u64 v[32:33], s[30:31], 0, v[130:131]
	v_lshl_add_u64 v[60:61], v[32:33], 0, v[106:107]
	global_load_dwordx4 v[40:43], v[60:61], off
	v_pack_b32_f16 v51, v35, v34
	s_waitcnt vmcnt(12)
	v_pk_fma_f16 v32, v66, v48, v56 op_sel_hi:[0,1,1]
	s_waitcnt vmcnt(11)
	v_pk_fma_f16 v44, v67, v48, v44 op_sel_hi:[0,1,1]
	v_pk_fma_f16 v33, v66, v49, v57 op_sel_hi:[0,1,1]
	;; [unrolled: 1-line block ×4, first 2 shown]
	s_waitcnt vmcnt(10)
	v_lshlrev_b32_e32 v48, 16, v36
	v_and_b32_e32 v36, 0xffff0000, v36
	v_cvt_f16_f32_e32 v36, v36
	v_cvt_f16_f32_e32 v48, v48
	scratch_store_dwordx4 off, v[32:35], off offset:16
	v_pk_fma_f16 v45, v67, v49, v45 op_sel_hi:[0,1,1]
	v_pk_fma_f16 v46, v67, v50, v46 op_sel_hi:[0,1,1]
	v_lshlrev_b32_e32 v32, 16, v37
	v_and_b32_e32 v33, 0xffff0000, v37
	v_cvt_f16_f32_e32 v33, v33
	v_cvt_f16_f32_e32 v32, v32
	v_pk_fma_f16 v47, v67, v51, v47 op_sel_hi:[0,1,1]
	v_lshlrev_b32_e32 v34, 16, v38
	v_and_b32_e32 v35, 0xffff0000, v38
	scratch_store_dwordx4 off, v[44:47], off offset:80
	v_cvt_f16_f32_e32 v37, v34
	v_lshlrev_b32_e32 v34, 16, v39
	v_pack_b32_f16 v44, v48, v36
	v_cvt_f16_f32_e32 v36, v35
	v_and_b32_e32 v35, 0xffff0000, v39
	scratch_load_dwordx4 v[52:55], off, off
	scratch_load_dwordx4 v[48:51], off, off offset:64
	v_cvt_f16_f32_e32 v38, v35
	v_cvt_f16_f32_e32 v39, v34
	v_pack_b32_f16 v45, v32, v33
	global_load_dwordx4 v[32:35], v[60:61], off offset:128
	s_waitcnt vmcnt(10)
	v_lshlrev_b32_e32 v56, 16, v160
	v_and_b32_e32 v57, 0xffff0000, v160
	v_cvt_f16_f32_e32 v57, v57
	v_cvt_f16_f32_e32 v56, v56
	v_pack_b32_f16 v46, v37, v36
	v_pack_b32_f16 v47, v39, v38
	v_pk_fma_f16 v36, v66, v44, v62 op_sel_hi:[0,1,1]
	v_pk_fma_f16 v44, v67, v44, v140 op_sel_hi:[0,1,1]
	v_pk_fma_f16 v37, v66, v45, v63 op_sel_hi:[0,1,1]
	v_pk_fma_f16 v45, v67, v45, v141 op_sel_hi:[0,1,1]
	v_pk_fma_f16 v38, v66, v46, v64 op_sel_hi:[0,1,1]
	v_pk_fma_f16 v46, v67, v46, v142 op_sel_hi:[0,1,1]
	v_pk_fma_f16 v39, v66, v47, v65 op_sel_hi:[0,1,1]
	v_pk_fma_f16 v47, v67, v47, v143 op_sel_hi:[0,1,1]
	scratch_store_dwordx4 off, v[36:39], off offset:32
	scratch_store_dwordx4 off, v[44:47], off offset:96
	v_pack_b32_f16 v63, v56, v57
	scratch_load_dwordx4 v[56:59], off, off offset:16
	scratch_load_dwordx4 v[44:47], off, off offset:80
	v_lshlrev_b32_e32 v36, 16, v161
	v_and_b32_e32 v37, 0xffff0000, v161
	v_cvt_f16_f32_e32 v37, v37
	v_cvt_f16_f32_e32 v36, v36
	v_lshlrev_b32_e32 v38, 16, v162
	v_and_b32_e32 v39, 0xffff0000, v162
	v_cvt_f16_f32_e32 v62, v39
	v_cvt_f16_f32_e32 v64, v38
	;; [unrolled: 4-line block ×3, first 2 shown]
	v_pack_b32_f16 v141, v36, v37
	global_load_dwordx4 v[36:39], v[60:61], off offset:256
	v_pack_b32_f16 v142, v64, v62
	v_pack_b32_f16 v143, v140, v65
	s_waitcnt vmcnt(13)
	v_pk_fma_f16 v62, v66, v63, v164 op_sel_hi:[0,1,1]
	s_waitcnt vmcnt(12)
	v_pk_fma_f16 v140, v67, v63, v168 op_sel_hi:[0,1,1]
	v_pk_fma_f16 v63, v66, v141, v165 op_sel_hi:[0,1,1]
	;; [unrolled: 1-line block ×4, first 2 shown]
	scratch_store_dwordx4 off, v[62:65], off offset:48
	v_pk_fma_f16 v141, v67, v141, v169 op_sel_hi:[0,1,1]
	v_pk_fma_f16 v142, v67, v142, v170 op_sel_hi:[0,1,1]
	;; [unrolled: 1-line block ×3, first 2 shown]
	scratch_store_dwordx4 off, v[140:143], off offset:112
	ds_read_u16 v66, v156 offset:48
	ds_read_u16 v67, v157 offset:48
	s_waitcnt vmcnt(12)
	v_lshlrev_b32_e32 v62, 16, v40
	v_lshlrev_b32_e32 v160, 16, v42
	v_and_b32_e32 v40, 0xffff0000, v40
	v_cvt_f16_f32_e32 v159, v62
	v_lshlrev_b32_e32 v62, 16, v41
	v_and_b32_e32 v41, 0xffff0000, v41
	v_and_b32_e32 v42, 0xffff0000, v42
	v_cvt_f16_f32_e32 v165, v160
	v_lshlrev_b32_e32 v160, 16, v43
	v_and_b32_e32 v43, 0xffff0000, v43
	v_cvt_f16_f32_e32 v40, v40
	v_cvt_f16_f32_e32 v41, v41
	;; [unrolled: 1-line block ×6, first 2 shown]
	scratch_load_dwordx4 v[62:65], off, off offset:32
	scratch_load_dwordx4 v[140:143], off, off offset:96
	global_load_dwordx4 v[160:163], v[60:61], off offset:384
	v_pack_b32_f16 v60, v159, v40
	v_pack_b32_f16 v61, v164, v41
	;; [unrolled: 1-line block ×4, first 2 shown]
	s_waitcnt vmcnt(12) lgkmcnt(1)
	v_pk_fma_f16 v40, v66, v60, v52 op_sel_hi:[0,1,1]
	v_pk_fma_f16 v41, v66, v61, v53 op_sel_hi:[0,1,1]
	;; [unrolled: 1-line block ×4, first 2 shown]
	scratch_store_dwordx4 off, v[40:43], off
	s_waitcnt vmcnt(12) lgkmcnt(0)
	v_pk_fma_f16 v48, v67, v60, v48 op_sel_hi:[0,1,1]
	v_pk_fma_f16 v49, v67, v61, v49 op_sel_hi:[0,1,1]
	s_waitcnt vmcnt(11)
	v_lshlrev_b32_e32 v40, 16, v32
	v_and_b32_e32 v32, 0xffff0000, v32
	v_lshlrev_b32_e32 v41, 16, v33
	v_and_b32_e32 v33, 0xffff0000, v33
	v_cvt_f16_f32_e32 v32, v32
	v_cvt_f16_f32_e32 v40, v40
	;; [unrolled: 1-line block ×4, first 2 shown]
	v_lshlrev_b32_e32 v42, 16, v34
	v_and_b32_e32 v34, 0xffff0000, v34
	v_cvt_f16_f32_e32 v34, v34
	v_cvt_f16_f32_e32 v42, v42
	v_pack_b32_f16 v40, v40, v32
	v_pack_b32_f16 v41, v41, v33
	v_lshlrev_b32_e32 v32, 16, v35
	v_and_b32_e32 v33, 0xffff0000, v35
	v_pack_b32_f16 v42, v42, v34
	v_cvt_f16_f32_e32 v34, v33
	v_cvt_f16_f32_e32 v35, v32
	v_lshl_add_u64 v[32:33], s[30:31], 0, v[132:133]
	v_pk_fma_f16 v50, v67, v159, v50 op_sel_hi:[0,1,1]
	v_pk_fma_f16 v51, v67, v164, v51 op_sel_hi:[0,1,1]
	scratch_load_dwordx4 v[164:167], off, off offset:48
	scratch_load_dwordx4 v[168:171], off, off offset:112
	v_lshl_add_u64 v[60:61], v[32:33], 0, v[106:107]
	scratch_store_dwordx4 off, v[48:51], off offset:64
	global_load_dwordx4 v[48:51], v[60:61], off
	v_pack_b32_f16 v43, v35, v34
	s_waitcnt vmcnt(12)
	v_pk_fma_f16 v32, v66, v40, v56 op_sel_hi:[0,1,1]
	s_waitcnt vmcnt(11)
	v_pk_fma_f16 v40, v67, v40, v44 op_sel_hi:[0,1,1]
	v_pk_fma_f16 v33, v66, v41, v57 op_sel_hi:[0,1,1]
	;; [unrolled: 1-line block ×7, first 2 shown]
	scratch_store_dwordx4 off, v[32:35], off offset:16
	scratch_store_dwordx4 off, v[40:43], off offset:80
	scratch_load_dwordx4 v[56:59], off, off
	scratch_load_dwordx4 v[52:55], off, off offset:64
	s_waitcnt vmcnt(14)
	v_lshlrev_b32_e32 v44, 16, v36
	v_and_b32_e32 v36, 0xffff0000, v36
	v_cvt_f16_f32_e32 v36, v36
	v_cvt_f16_f32_e32 v44, v44
	v_lshlrev_b32_e32 v32, 16, v37
	v_and_b32_e32 v33, 0xffff0000, v37
	v_lshlrev_b32_e32 v34, 16, v38
	v_pack_b32_f16 v40, v44, v36
	v_and_b32_e32 v35, 0xffff0000, v38
	v_lshlrev_b32_e32 v36, 16, v39
	v_and_b32_e32 v37, 0xffff0000, v39
	v_cvt_f16_f32_e32 v33, v33
	v_cvt_f16_f32_e32 v32, v32
	;; [unrolled: 1-line block ×6, first 2 shown]
	v_pack_b32_f16 v38, v32, v33
	v_pack_b32_f16 v39, v34, v35
	global_load_dwordx4 v[32:35], v[60:61], off offset:128
	v_pack_b32_f16 v43, v36, v37
	s_add_u32 s30, s30, s25
	s_addc_u32 s31, s31, 0
	s_lshl_b64 s[12:13], s[26:27], 1
	s_waitcnt vmcnt(12)
	v_pk_fma_f16 v36, v66, v40, v62 op_sel_hi:[0,1,1]
	v_pk_fma_f16 v37, v66, v38, v63 op_sel_hi:[0,1,1]
	s_waitcnt vmcnt(11)
	v_pk_fma_f16 v41, v67, v38, v141 op_sel_hi:[0,1,1]
	v_pk_fma_f16 v38, v66, v39, v64 op_sel_hi:[0,1,1]
	;; [unrolled: 1-line block ×4, first 2 shown]
	s_waitcnt vmcnt(10)
	v_lshlrev_b32_e32 v44, 16, v160
	v_and_b32_e32 v45, 0xffff0000, v160
	scratch_store_dwordx4 off, v[36:39], off offset:32
	v_cvt_f16_f32_e32 v45, v45
	v_cvt_f16_f32_e32 v44, v44
	v_lshlrev_b32_e32 v36, 16, v161
	v_and_b32_e32 v37, 0xffff0000, v161
	v_cvt_f16_f32_e32 v37, v37
	v_cvt_f16_f32_e32 v36, v36
	v_lshlrev_b32_e32 v38, 16, v162
	v_and_b32_e32 v39, 0xffff0000, v162
	v_pk_fma_f16 v40, v67, v40, v140 op_sel_hi:[0,1,1]
	v_pk_fma_f16 v43, v67, v43, v143 op_sel_hi:[0,1,1]
	v_cvt_f16_f32_e32 v62, v39
	v_cvt_f16_f32_e32 v64, v38
	v_lshlrev_b32_e32 v38, 16, v163
	v_and_b32_e32 v39, 0xffff0000, v163
	scratch_store_dwordx4 off, v[40:43], off offset:96
	v_cvt_f16_f32_e32 v65, v39
	v_cvt_f16_f32_e32 v140, v38
	v_pack_b32_f16 v63, v44, v45
	scratch_load_dwordx4 v[44:47], off, off offset:16
	scratch_load_dwordx4 v[40:43], off, off offset:80
	v_pack_b32_f16 v141, v36, v37
	global_load_dwordx4 v[36:39], v[60:61], off offset:256
	v_pack_b32_f16 v142, v64, v62
	v_pack_b32_f16 v143, v140, v65
	s_add_u32 s28, s28, s12
	s_addc_u32 s29, s29, s13
	s_cmp_ge_i32 s24, s21
	s_waitcnt vmcnt(13)
	v_pk_fma_f16 v62, v66, v63, v164 op_sel_hi:[0,1,1]
	s_waitcnt vmcnt(12)
	v_pk_fma_f16 v140, v67, v63, v168 op_sel_hi:[0,1,1]
	v_pk_fma_f16 v63, v66, v141, v165 op_sel_hi:[0,1,1]
	;; [unrolled: 1-line block ×7, first 2 shown]
	scratch_store_dwordx4 off, v[62:65], off offset:48
	scratch_store_dwordx4 off, v[140:143], off offset:112
	s_waitcnt vmcnt(12)
	v_lshlrev_b32_e32 v66, 16, v50
	v_lshlrev_b32_e32 v64, 16, v48
	v_and_b32_e32 v48, 0xffff0000, v48
	v_lshlrev_b32_e32 v65, 16, v49
	v_and_b32_e32 v49, 0xffff0000, v49
	v_and_b32_e32 v50, 0xffff0000, v50
	v_lshlrev_b32_e32 v67, 16, v51
	v_and_b32_e32 v51, 0xffff0000, v51
	ds_read_u16 v63, v156 offset:56
	ds_read_u16 v62, v157 offset:56
	v_cvt_f16_f32_e32 v48, v48
	v_cvt_f16_f32_e32 v64, v64
	scratch_load_dwordx4 v[140:143], off, off offset:32
	scratch_load_dwordx4 v[160:163], off, off offset:96
	v_cvt_f16_f32_e32 v49, v49
	v_cvt_f16_f32_e32 v65, v65
	;; [unrolled: 1-line block ×4, first 2 shown]
	global_load_dwordx4 v[164:167], v[60:61], off offset:384
	v_cvt_f16_f32_e32 v51, v51
	v_cvt_f16_f32_e32 v60, v67
	v_pack_b32_f16 v61, v64, v48
	v_pack_b32_f16 v64, v65, v49
	;; [unrolled: 1-line block ×4, first 2 shown]
	s_waitcnt vmcnt(12) lgkmcnt(1)
	v_pk_fma_f16 v48, v63, v61, v56 op_sel_hi:[0,1,1]
	s_waitcnt vmcnt(11) lgkmcnt(0)
	v_pk_fma_f16 v52, v62, v61, v52 op_sel_hi:[0,1,1]
	v_pk_fma_f16 v49, v63, v64, v57 op_sel_hi:[0,1,1]
	v_pk_fma_f16 v53, v62, v64, v53 op_sel_hi:[0,1,1]
	v_pk_fma_f16 v50, v63, v65, v58 op_sel_hi:[0,1,1]
	v_pk_fma_f16 v54, v62, v65, v54 op_sel_hi:[0,1,1]
	v_pk_fma_f16 v51, v63, v60, v59 op_sel_hi:[0,1,1]
	v_pk_fma_f16 v55, v62, v60, v55 op_sel_hi:[0,1,1]
	scratch_store_dwordx4 off, v[48:51], off
	scratch_store_dwordx4 off, v[52:55], off offset:64
	scratch_load_dwordx4 v[48:51], off, off offset:48
	s_nop 0
	scratch_load_dwordx4 v[52:55], off, off offset:112
	s_waitcnt vmcnt(14)
	v_lshlrev_b32_e32 v56, 16, v32
	v_and_b32_e32 v32, 0xffff0000, v32
	v_lshlrev_b32_e32 v57, 16, v33
	v_and_b32_e32 v33, 0xffff0000, v33
	;; [unrolled: 2-line block ×4, first 2 shown]
	v_cvt_f16_f32_e32 v32, v32
	v_cvt_f16_f32_e32 v56, v56
	;; [unrolled: 1-line block ×8, first 2 shown]
	v_pack_b32_f16 v56, v56, v32
	v_pack_b32_f16 v57, v57, v33
	;; [unrolled: 1-line block ×4, first 2 shown]
	s_waitcnt vmcnt(11)
	v_pk_fma_f16 v32, v63, v56, v44 op_sel_hi:[0,1,1]
	v_pk_fma_f16 v33, v63, v57, v45 op_sel_hi:[0,1,1]
	;; [unrolled: 1-line block ×4, first 2 shown]
	scratch_store_dwordx4 off, v[32:35], off offset:16
	s_waitcnt vmcnt(11)
	v_pk_fma_f16 v40, v62, v56, v40 op_sel_hi:[0,1,1]
	v_pk_fma_f16 v41, v62, v57, v41 op_sel_hi:[0,1,1]
	s_waitcnt vmcnt(10)
	v_lshlrev_b32_e32 v32, 16, v36
	v_and_b32_e32 v33, 0xffff0000, v36
	v_lshlrev_b32_e32 v34, 16, v37
	v_and_b32_e32 v35, 0xffff0000, v37
	;; [unrolled: 2-line block ×4, first 2 shown]
	v_cvt_f16_f32_e32 v33, v33
	v_cvt_f16_f32_e32 v32, v32
	;; [unrolled: 1-line block ×8, first 2 shown]
	v_pack_b32_f16 v33, v32, v33
	v_pack_b32_f16 v34, v34, v35
	;; [unrolled: 1-line block ×4, first 2 shown]
	v_pk_fma_f16 v42, v62, v58, v42 op_sel_hi:[0,1,1]
	v_pk_fma_f16 v43, v62, v59, v43 op_sel_hi:[0,1,1]
	scratch_store_dwordx4 off, v[40:43], off offset:80
	s_waitcnt vmcnt(8)
	v_pk_fma_f16 v32, v63, v33, v140 op_sel_hi:[0,1,1]
	s_waitcnt vmcnt(7)
	v_pk_fma_f16 v36, v62, v33, v160 op_sel_hi:[0,1,1]
	v_pk_fma_f16 v33, v63, v34, v141 op_sel_hi:[0,1,1]
	;; [unrolled: 1-line block ×7, first 2 shown]
	scratch_store_dwordx4 off, v[32:35], off offset:32
	scratch_store_dwordx4 off, v[36:39], off offset:96
	v_mov_b32_e32 v140, v138
	s_waitcnt vmcnt(8)
	v_lshlrev_b32_e32 v32, 16, v164
	v_and_b32_e32 v33, 0xffff0000, v164
	v_lshlrev_b32_e32 v34, 16, v165
	v_and_b32_e32 v35, 0xffff0000, v165
	;; [unrolled: 2-line block ×4, first 2 shown]
	v_cvt_f16_f32_e32 v33, v33
	v_cvt_f16_f32_e32 v32, v32
	;; [unrolled: 1-line block ×8, first 2 shown]
	v_pack_b32_f16 v33, v32, v33
	v_pack_b32_f16 v34, v34, v35
	;; [unrolled: 1-line block ×4, first 2 shown]
	s_waitcnt vmcnt(5)
	v_pk_fma_f16 v32, v63, v33, v48 op_sel_hi:[0,1,1]
	s_waitcnt vmcnt(4)
	v_pk_fma_f16 v36, v62, v33, v52 op_sel_hi:[0,1,1]
	v_pk_fma_f16 v33, v63, v34, v49 op_sel_hi:[0,1,1]
	v_pk_fma_f16 v37, v62, v34, v53 op_sel_hi:[0,1,1]
	v_pk_fma_f16 v34, v63, v35, v50 op_sel_hi:[0,1,1]
	v_pk_fma_f16 v38, v62, v35, v54 op_sel_hi:[0,1,1]
	v_pk_fma_f16 v35, v63, v39, v51 op_sel_hi:[0,1,1]
	v_pk_fma_f16 v39, v62, v39, v55 op_sel_hi:[0,1,1]
	v_mov_b32_e32 v141, v139
	scratch_store_dwordx4 off, v[32:35], off offset:48
	scratch_store_dwordx4 off, v[36:39], off offset:112
	s_cbranch_scc1 .LBB31_70
.LBB31_22:                              ; =>This Inner Loop Header: Depth=1
	v_lshl_add_u64 v[32:33], s[34:35], 0, v[108:109]
	v_lshl_add_u64 v[34:35], v[32:33], 0, v[104:105]
	global_load_dword v36, v[34:35], off offset:2
	global_load_dword v37, v[34:35], off offset:20
	;; [unrolled: 1-line block ×7, first 2 shown]
	s_nop 0
	global_load_dword v34, v[34:35], off offset:128
	s_nop 0
	global_load_ushort v40, v[32:33], off
	global_load_ushort v41, v[32:33], off offset:18
	global_load_ushort v42, v[32:33], off offset:36
	;; [unrolled: 1-line block ×7, first 2 shown]
	v_mov_b32_e32 v58, 0
	v_mov_b32_e32 v59, 0
	;; [unrolled: 1-line block ×12, first 2 shown]
	s_waitcnt vmcnt(15)
	v_and_b32_e32 v55, 0xf0f0f0f, v36
	v_lshrrev_b32_e32 v33, 4, v36
	v_and_b32_e32 v57, 0xf0f0f0f, v33
	v_dot4c_i32_i8_e32 v58, v55, v70
	s_waitcnt vmcnt(14)
	v_and_b32_e32 v52, 0xf0f0f0f, v37
	v_lshrrev_b32_e32 v36, 4, v37
	v_dot4c_i32_i8_e32 v59, v57, v71
	s_waitcnt vmcnt(8)
	v_and_b32_e32 v32, 0xf0f0f0f, v34
	v_lshrrev_b32_e32 v34, 4, v34
	v_and_b32_e32 v33, 0xf0f0f0f, v34
	v_cvt_f32_i32_e32 v34, v58
	v_and_b32_e32 v54, 0xf0f0f0f, v36
	v_dot4c_i32_i8_e32 v60, v52, v72
	v_cvt_f32_i32_e32 v59, v59
	v_and_b32_e32 v50, 0xf0f0f0f, v38
	v_lshrrev_b32_e32 v37, 4, v38
	v_cvt_f32_i32_e32 v36, v60
	v_dot4c_i32_i8_e32 v61, v54, v73
	v_and_b32_e32 v35, 0xf0f0f0f, v51
	v_lshrrev_b32_e32 v143, 4, v51
	v_and_b32_e32 v51, 0xf0f0f0f, v37
	v_dot4c_i32_i8_e32 v62, v50, v74
	v_cvt_f32_i32_e32 v61, v61
	v_and_b32_e32 v48, 0xf0f0f0f, v39
	v_lshrrev_b32_e32 v39, 4, v39
	v_cvt_f32_i32_e32 v58, v62
	v_dot4c_i32_i8_e32 v63, v51, v75
	v_fma_f32 v34, v0, v34, -v1
	v_and_b32_e32 v38, 0xf0f0f0f, v49
	v_lshrrev_b32_e32 v142, 4, v49
	v_and_b32_e32 v49, 0xf0f0f0f, v39
	v_dot4c_i32_i8_e32 v64, v48, v76
	v_cvt_f32_i32_e32 v63, v63
	s_waitcnt vmcnt(7)
	v_fma_mix_f32 v34, v34, v40, 0 op_sel_hi:[0,1,0]
	v_fma_f32 v59, v0, v59, -v1
	v_and_b32_e32 v43, 0xf0f0f0f, v45
	v_lshrrev_b32_e32 v45, 4, v45
	v_cvt_f32_i32_e32 v60, v64
	v_dot4c_i32_i8_e32 v65, v49, v77
	v_fma_f32 v36, v2, v36, -v3
	v_fma_mix_f32 v34, v59, v40, v34 op_sel_hi:[0,1,0]
	v_and_b32_e32 v45, 0xf0f0f0f, v45
	v_dot4c_i32_i8_e32 v66, v43, v78
	v_cvt_f32_i32_e32 v65, v65
	v_fma_f32 v61, v2, v61, -v3
	s_waitcnt vmcnt(6)
	v_fma_mix_f32 v34, v36, v41, v34 op_sel_hi:[0,1,0]
	v_cvt_f32_i32_e32 v62, v66
	v_dot4c_i32_i8_e32 v67, v45, v79
	v_fma_f32 v58, v4, v58, -v5
	v_fma_mix_f32 v34, v61, v41, v34 op_sel_hi:[0,1,0]
	v_and_b32_e32 v39, 0xf0f0f0f, v142
	v_dot4c_i32_i8_e32 v138, v38, v80
	v_cvt_f32_i32_e32 v66, v67
	v_fma_f32 v63, v4, v63, -v5
	s_waitcnt vmcnt(5)
	v_fma_mix_f32 v34, v58, v42, v34 op_sel_hi:[0,1,0]
	v_cvt_f32_i32_e32 v64, v138
	v_dot4c_i32_i8_e32 v139, v39, v81
	v_fma_f32 v60, v6, v60, -v7
	v_fma_mix_f32 v34, v63, v42, v34 op_sel_hi:[0,1,0]
	v_mov_b32_e32 v58, 0
	v_and_b32_e32 v37, 0xf0f0f0f, v143
	v_cvt_f32_i32_e32 v67, v139
	v_fma_f32 v65, v6, v65, -v7
	s_waitcnt vmcnt(4)
	v_fma_mix_f32 v34, v60, v44, v34 op_sel_hi:[0,1,0]
	v_dot4c_i32_i8_e32 v58, v35, v82
	v_mov_b32_e32 v59, 0
	v_fma_f32 v62, v8, v62, -v9
	v_fma_mix_f32 v34, v65, v44, v34 op_sel_hi:[0,1,0]
	v_cvt_f32_i32_e32 v58, v58
	v_dot4c_i32_i8_e32 v59, v37, v83
	v_fma_f32 v66, v8, v66, -v9
	s_waitcnt vmcnt(3)
	v_fma_mix_f32 v34, v62, v46, v34 op_sel_hi:[0,1,0]
	v_fma_f32 v64, v10, v64, -v11
	v_cvt_f32_i32_e32 v59, v59
	v_fma_mix_f32 v34, v66, v46, v34 op_sel_hi:[0,1,0]
	s_waitcnt vmcnt(2)
	v_fma_mix_f32 v34, v64, v47, v34 op_sel_hi:[0,1,0]
	v_fma_f32 v36, v10, v67, -v11
	v_fma_mix_f32 v34, v36, v47, v34 op_sel_hi:[0,1,0]
	v_fma_f32 v36, v12, v58, -v13
	v_mov_b32_e32 v58, 0
	s_waitcnt vmcnt(1)
	v_fma_mix_f32 v34, v36, v56, v34 op_sel_hi:[0,1,0]
	v_fma_f32 v36, v12, v59, -v13
	v_dot4c_i32_i8_e32 v58, v32, v84
	v_mov_b32_e32 v59, 0
	v_dot4c_i32_i8_e32 v59, v33, v85
	v_fma_mix_f32 v34, v36, v56, v34 op_sel_hi:[0,1,0]
	v_cvt_f32_i32_e32 v58, v58
	v_fma_f32 v36, v14, v58, -v15
	v_cvt_f32_i32_e32 v59, v59
	s_waitcnt vmcnt(0)
	v_fma_mix_f32 v34, v36, v53, v34 op_sel_hi:[0,1,0]
	v_fma_f32 v36, v14, v59, -v15
	v_fma_mix_f32 v34, v36, v53, v34 op_sel_hi:[0,1,0]
	ds_bpermute_b32 v36, v151, v34
	s_waitcnt lgkmcnt(0)
	v_add_f32_e32 v34, v34, v36
	ds_bpermute_b32 v36, v152, v34
	s_waitcnt lgkmcnt(0)
	v_add_f32_e32 v34, v34, v36
	v_cmp_nlt_f32_e64 s[12:13], |v34|, s42
                                        ; implicit-def: $vgpr36
	s_and_saveexec_b64 s[14:15], s[12:13]
	s_xor_b64 s[12:13], exec, s[14:15]
	s_cbranch_execz .LBB31_24
; %bb.23:                               ;   in Loop: Header=BB31_22 Depth=1
	v_add_f32_e64 v36, |v34|, |v34|
	v_mul_f32_e32 v58, 0x3fb8aa3b, v36
	v_rndne_f32_e32 v59, v58
	v_sub_f32_e32 v60, v58, v59
	v_fma_f32 v58, v36, s43, -v58
	v_fmac_f32_e32 v58, 0x32a5705f, v36
	v_add_f32_e32 v58, v60, v58
	v_cvt_i32_f32_e32 v59, v59
	v_exp_f32_e32 v58, v58
	v_cmp_ngt_f32_e32 vcc, s46, v36
	v_ldexp_f32 v58, v58, v59
	s_nop 0
	v_cndmask_b32_e32 v58, 0, v58, vcc
	v_cmp_nlt_f32_e32 vcc, s47, v36
	s_nop 1
	v_cndmask_b32_e32 v36, v158, v58, vcc
	v_add_f32_e32 v36, 1.0, v36
	v_rcp_f32_e32 v36, v36
	s_nop 0
	v_fma_f32 v36, v36, -2.0, 1.0
.LBB31_24:                              ;   in Loop: Header=BB31_22 Depth=1
	s_andn2_saveexec_b64 s[12:13], s[12:13]
; %bb.25:                               ;   in Loop: Header=BB31_22 Depth=1
	v_mul_f32_e32 v36, v34, v34
	v_fmamk_f32 v58, v36, 0xbbbac73d, v103
	v_fmaak_f32 v58, v36, v58, 0xbd5c1c4e
	v_fmaak_f32 v58, v36, v58, 0x3e088382
	;; [unrolled: 1-line block ×3, first 2 shown]
	v_mul_f32_e64 v58, |v34|, v58
	v_fma_f32 v36, v36, v58, |v34|
; %bb.26:                               ;   in Loop: Header=BB31_22 Depth=1
	s_or_b64 exec, exec, s[12:13]
	v_bfi_b32 v34, s52, v36, v34
	v_cndmask_b32_e64 v36, 0, 1, s[36:37]
	v_mul_f32_e32 v34, s23, v34
	v_cmp_ne_u32_e64 s[12:13], 1, v36
	s_andn2_b64 vcc, exec, s[36:37]
	v_lshlrev_b32_e32 v36, 1, v102
	s_cbranch_vccnz .LBB31_28
; %bb.27:                               ;   in Loop: Header=BB31_22 Depth=1
	global_load_ushort v58, v36, s[28:29]
	s_waitcnt vmcnt(0)
	v_fma_mix_f32 v34, v149, v58, v34 op_sel_hi:[0,1,0]
.LBB31_28:                              ;   in Loop: Header=BB31_22 Depth=1
	v_mov_b32_e32 v58, 0
	v_dot4c_i32_i8_e32 v58, v55, v86
	v_cvt_f32_f16_e32 v40, v40
	v_cvt_f32_f16_e32 v41, v41
	;; [unrolled: 1-line block ×3, first 2 shown]
	v_cvt_f32_i32_e32 v55, v58
	v_mov_b32_e32 v58, 0
	v_dot4c_i32_i8_e32 v58, v57, v87
	v_cvt_f32_f16_e32 v44, v44
	v_fma_f32 v55, v16, v55, -v17
	v_fma_f32 v55, v55, v40, 0
	v_cvt_f32_i32_e32 v57, v58
	v_mov_b32_e32 v58, 0
	v_dot4c_i32_i8_e32 v58, v52, v88
	v_cvt_f32_f16_e32 v46, v46
	v_fma_f32 v57, v16, v57, -v17
	v_fmac_f32_e32 v55, v57, v40
	v_cvt_f32_i32_e32 v52, v58
	v_mov_b32_e32 v58, 0
	v_dot4c_i32_i8_e32 v58, v54, v89
	v_cvt_f32_f16_e32 v47, v47
	v_fma_f32 v40, v18, v52, -v19
	v_mov_b32_e32 v52, 0
	v_cvt_f32_i32_e32 v54, v58
	v_dot4c_i32_i8_e32 v52, v50, v90
	v_fmac_f32_e32 v55, v40, v41
	v_cvt_f32_f16_e32 v56, v56
	v_fma_f32 v40, v18, v54, -v19
	v_cvt_f32_i32_e32 v50, v52
	v_mov_b32_e32 v52, 0
	v_dot4c_i32_i8_e32 v52, v51, v91
	v_fmac_f32_e32 v55, v40, v41
	v_mov_b32_e32 v41, 0
	v_dot4c_i32_i8_e32 v41, v48, v92
	v_cvt_f32_i32_e32 v51, v52
	v_fma_f32 v40, v20, v50, -v21
	v_fmac_f32_e32 v55, v40, v42
	v_cvt_f32_i32_e32 v41, v41
	v_fma_f32 v40, v20, v51, -v21
	v_mov_b32_e32 v48, 0
	v_dot4c_i32_i8_e32 v48, v49, v93
	v_fmac_f32_e32 v55, v40, v42
	v_fma_f32 v40, v22, v41, -v23
	v_mov_b32_e32 v41, 0
	v_cvt_f32_i32_e32 v48, v48
	v_dot4c_i32_i8_e32 v41, v43, v94
	v_fmac_f32_e32 v55, v40, v44
	v_mov_b32_e32 v42, 0
	v_fma_f32 v40, v22, v48, -v23
	v_cvt_f32_i32_e32 v41, v41
	v_fmac_f32_e32 v55, v40, v44
	v_dot4c_i32_i8_e32 v42, v45, v95
	v_cvt_f32_f16_e32 v53, v53
	v_fma_f32 v40, v24, v41, -v25
	v_mov_b32_e32 v41, 0
	v_dot4c_i32_i8_e32 v41, v38, v96
	v_cvt_f32_i32_e32 v42, v42
	v_fmac_f32_e32 v55, v40, v46
	v_fma_f32 v40, v24, v42, -v25
	v_cvt_f32_i32_e32 v38, v41
	v_mov_b32_e32 v41, 0
	v_dot4c_i32_i8_e32 v41, v39, v97
	v_fmac_f32_e32 v55, v40, v46
	v_fma_f32 v38, v26, v38, -v27
	v_fmac_f32_e32 v55, v38, v47
	v_cvt_f32_i32_e32 v39, v41
	v_fma_f32 v38, v26, v39, -v27
	v_mov_b32_e32 v39, 0
	v_dot4c_i32_i8_e32 v39, v35, v98
	v_fmac_f32_e32 v55, v38, v47
	s_nop 1
	v_cvt_f32_i32_e32 v35, v39
	v_mov_b32_e32 v39, 0
	v_dot4c_i32_i8_e32 v39, v37, v99
	v_fma_f32 v35, v28, v35, -v29
	v_fmac_f32_e32 v55, v35, v56
	s_nop 0
	v_cvt_f32_i32_e32 v37, v39
	v_fma_f32 v35, v28, v37, -v29
	v_mov_b32_e32 v37, 0
	v_dot4c_i32_i8_e32 v37, v32, v100
	v_fmac_f32_e32 v55, v35, v56
	s_nop 1
	v_cvt_f32_i32_e32 v32, v37
	v_mov_b32_e32 v37, 0
	v_dot4c_i32_i8_e32 v37, v33, v101
	v_fma_f32 v32, v30, v32, -v31
	v_fmac_f32_e32 v55, v32, v53
	s_nop 0
	v_cvt_f32_i32_e32 v33, v37
	v_fma_f32 v32, v30, v33, -v31
	v_fmac_f32_e32 v55, v32, v53
	ds_bpermute_b32 v32, v151, v55
	s_waitcnt lgkmcnt(0)
	v_add_f32_e32 v32, v55, v32
	ds_bpermute_b32 v33, v152, v32
	s_waitcnt lgkmcnt(0)
	v_add_f32_e32 v32, v32, v33
	v_cmp_nlt_f32_e64 s[14:15], |v32|, s42
                                        ; implicit-def: $vgpr33
	s_and_saveexec_b64 s[40:41], s[14:15]
	s_xor_b64 s[14:15], exec, s[40:41]
	s_cbranch_execz .LBB31_30
; %bb.29:                               ;   in Loop: Header=BB31_22 Depth=1
	v_add_f32_e64 v33, |v32|, |v32|
	v_mul_f32_e32 v35, 0x3fb8aa3b, v33
	v_rndne_f32_e32 v37, v35
	v_sub_f32_e32 v38, v35, v37
	v_fma_f32 v35, v33, s43, -v35
	v_fmac_f32_e32 v35, 0x32a5705f, v33
	v_add_f32_e32 v35, v38, v35
	v_cvt_i32_f32_e32 v37, v37
	v_exp_f32_e32 v35, v35
	v_cmp_ngt_f32_e32 vcc, s46, v33
	v_ldexp_f32 v35, v35, v37
	s_nop 0
	v_cndmask_b32_e32 v35, 0, v35, vcc
	v_cmp_nlt_f32_e32 vcc, s47, v33
	s_nop 1
	v_cndmask_b32_e32 v33, v158, v35, vcc
	v_add_f32_e32 v33, 1.0, v33
	v_rcp_f32_e32 v33, v33
	s_nop 0
	v_fma_f32 v33, v33, -2.0, 1.0
.LBB31_30:                              ;   in Loop: Header=BB31_22 Depth=1
	s_andn2_saveexec_b64 s[14:15], s[14:15]
; %bb.31:                               ;   in Loop: Header=BB31_22 Depth=1
	v_mul_f32_e32 v33, v32, v32
	v_fmamk_f32 v35, v33, 0xbbbac73d, v103
	v_fmaak_f32 v35, v33, v35, 0xbd5c1c4e
	v_fmaak_f32 v35, v33, v35, 0x3e088382
	;; [unrolled: 1-line block ×3, first 2 shown]
	v_mul_f32_e64 v35, |v32|, v35
	v_fma_f32 v33, v33, v35, |v32|
; %bb.32:                               ;   in Loop: Header=BB31_22 Depth=1
	s_or_b64 exec, exec, s[14:15]
	v_bfi_b32 v32, s52, v33, v32
	v_cndmask_b32_e64 v33, 0, 1, s[38:39]
	v_cmp_ne_u32_e64 s[14:15], 1, v33
	s_andn2_b64 vcc, exec, s[38:39]
	v_mul_f32_e32 v35, s23, v32
	s_cbranch_vccnz .LBB31_34
; %bb.33:                               ;   in Loop: Header=BB31_22 Depth=1
	v_lshl_add_u64 v[32:33], v[110:111], 1, s[28:29]
	global_load_ushort v32, v[32:33], off
	s_waitcnt vmcnt(0)
	v_fma_mix_f32 v35, v149, v32, v35 op_sel_hi:[0,1,0]
.LBB31_34:                              ;   in Loop: Header=BB31_22 Depth=1
	v_lshl_add_u64 v[32:33], s[34:35], 0, v[112:113]
	v_lshl_add_u64 v[38:39], v[32:33], 0, v[104:105]
	global_load_dword v37, v[38:39], off offset:2
	global_load_dword v40, v[38:39], off offset:20
	;; [unrolled: 1-line block ×7, first 2 shown]
	s_nop 0
	global_load_dword v39, v[38:39], off offset:128
	s_nop 0
	global_load_ushort v42, v[32:33], off
	global_load_ushort v43, v[32:33], off offset:18
	global_load_ushort v44, v[32:33], off offset:36
	;; [unrolled: 1-line block ×7, first 2 shown]
	v_mov_b32_e32 v60, 0
	v_mov_b32_e32 v61, 0
	;; [unrolled: 1-line block ×12, first 2 shown]
	s_waitcnt vmcnt(15)
	v_and_b32_e32 v57, 0xf0f0f0f, v37
	v_lshrrev_b32_e32 v33, 4, v37
	s_waitcnt vmcnt(14)
	v_lshrrev_b32_e32 v37, 4, v40
	v_and_b32_e32 v59, 0xf0f0f0f, v33
	v_dot4c_i32_i8_e32 v60, v57, v70
	v_and_b32_e32 v54, 0xf0f0f0f, v40
	v_and_b32_e32 v56, 0xf0f0f0f, v37
	v_dot4c_i32_i8_e32 v61, v59, v71
	v_cvt_f32_i32_e32 v37, v60
	v_dot4c_i32_i8_e32 v62, v54, v72
	s_waitcnt vmcnt(13)
	v_and_b32_e32 v52, 0xf0f0f0f, v41
	v_cvt_f32_i32_e32 v61, v61
	v_lshrrev_b32_e32 v41, 4, v41
	v_cvt_f32_i32_e32 v60, v62
	v_dot4c_i32_i8_e32 v63, v56, v73
	s_waitcnt vmcnt(9)
	v_and_b32_e32 v38, 0xf0f0f0f, v53
	v_lshrrev_b32_e32 v161, 4, v53
	v_and_b32_e32 v53, 0xf0f0f0f, v41
	v_dot4c_i32_i8_e32 v64, v52, v74
	v_cvt_f32_i32_e32 v63, v63
	v_and_b32_e32 v50, 0xf0f0f0f, v45
	v_lshrrev_b32_e32 v159, 4, v45
	v_cvt_f32_i32_e32 v62, v64
	v_dot4c_i32_i8_e32 v65, v53, v75
	v_fma_f32 v37, v0, v37, -v1
	v_and_b32_e32 v40, 0xf0f0f0f, v51
	v_lshrrev_b32_e32 v160, 4, v51
	v_and_b32_e32 v51, 0xf0f0f0f, v159
	v_dot4c_i32_i8_e32 v66, v50, v76
	v_cvt_f32_i32_e32 v65, v65
	s_waitcnt vmcnt(7)
	v_fma_mix_f32 v37, v37, v42, 0 op_sel_hi:[0,1,0]
	v_fma_f32 v61, v0, v61, -v1
	v_and_b32_e32 v45, 0xf0f0f0f, v47
	v_lshrrev_b32_e32 v47, 4, v47
	v_cvt_f32_i32_e32 v64, v66
	v_dot4c_i32_i8_e32 v67, v51, v77
	v_fma_f32 v60, v2, v60, -v3
	v_fma_mix_f32 v37, v61, v42, v37 op_sel_hi:[0,1,0]
	v_and_b32_e32 v47, 0xf0f0f0f, v47
	v_dot4c_i32_i8_e32 v138, v45, v78
	v_cvt_f32_i32_e32 v67, v67
	v_fma_f32 v63, v2, v63, -v3
	s_waitcnt vmcnt(6)
	v_fma_mix_f32 v37, v60, v43, v37 op_sel_hi:[0,1,0]
	v_cvt_f32_i32_e32 v66, v138
	v_dot4c_i32_i8_e32 v139, v47, v79
	v_fma_f32 v62, v4, v62, -v5
	v_fma_mix_f32 v37, v63, v43, v37 op_sel_hi:[0,1,0]
	v_and_b32_e32 v41, 0xf0f0f0f, v160
	v_dot4c_i32_i8_e32 v142, v40, v80
	v_cvt_f32_i32_e32 v139, v139
	v_fma_f32 v65, v4, v65, -v5
	s_waitcnt vmcnt(5)
	v_fma_mix_f32 v37, v62, v44, v37 op_sel_hi:[0,1,0]
	v_cvt_f32_i32_e32 v138, v142
	v_dot4c_i32_i8_e32 v143, v41, v81
	v_fma_f32 v64, v6, v64, -v7
	v_fma_mix_f32 v37, v65, v44, v37 op_sel_hi:[0,1,0]
	v_mov_b32_e32 v61, 0
	v_and_b32_e32 v32, 0xf0f0f0f, v39
	v_lshrrev_b32_e32 v162, 4, v39
	v_and_b32_e32 v39, 0xf0f0f0f, v161
	v_cvt_f32_i32_e32 v142, v143
	v_fma_f32 v67, v6, v67, -v7
	s_waitcnt vmcnt(4)
	v_fma_mix_f32 v37, v64, v46, v37 op_sel_hi:[0,1,0]
	v_dot4c_i32_i8_e32 v61, v38, v82
	v_mov_b32_e32 v62, 0
	v_fma_f32 v66, v8, v66, -v9
	v_fma_mix_f32 v37, v67, v46, v37 op_sel_hi:[0,1,0]
	v_cvt_f32_i32_e32 v61, v61
	v_dot4c_i32_i8_e32 v62, v39, v83
	v_fma_f32 v139, v8, v139, -v9
	s_waitcnt vmcnt(3)
	v_fma_mix_f32 v37, v66, v48, v37 op_sel_hi:[0,1,0]
	v_fma_f32 v138, v10, v138, -v11
	v_cvt_f32_i32_e32 v62, v62
	v_fma_mix_f32 v37, v139, v48, v37 op_sel_hi:[0,1,0]
	s_waitcnt vmcnt(2)
	v_fma_mix_f32 v37, v138, v49, v37 op_sel_hi:[0,1,0]
	v_fma_f32 v60, v10, v142, -v11
	v_fma_mix_f32 v37, v60, v49, v37 op_sel_hi:[0,1,0]
	v_fma_f32 v60, v12, v61, -v13
	v_mov_b32_e32 v61, 0
	v_and_b32_e32 v33, 0xf0f0f0f, v162
	s_waitcnt vmcnt(1)
	v_fma_mix_f32 v37, v60, v58, v37 op_sel_hi:[0,1,0]
	v_fma_f32 v60, v12, v62, -v13
	v_dot4c_i32_i8_e32 v61, v32, v84
	v_mov_b32_e32 v62, 0
	v_dot4c_i32_i8_e32 v62, v33, v85
	v_fma_mix_f32 v37, v60, v58, v37 op_sel_hi:[0,1,0]
	v_cvt_f32_i32_e32 v61, v61
	v_fma_f32 v60, v14, v61, -v15
	v_cvt_f32_i32_e32 v62, v62
	s_waitcnt vmcnt(0)
	v_fma_mix_f32 v37, v60, v55, v37 op_sel_hi:[0,1,0]
	v_fma_f32 v60, v14, v62, -v15
	v_fma_mix_f32 v37, v60, v55, v37 op_sel_hi:[0,1,0]
	ds_bpermute_b32 v60, v151, v37
	s_waitcnt lgkmcnt(0)
	v_add_f32_e32 v37, v37, v60
	ds_bpermute_b32 v60, v152, v37
	s_waitcnt lgkmcnt(0)
	v_add_f32_e32 v37, v37, v60
	v_cmp_nlt_f32_e64 s[40:41], |v37|, s42
                                        ; implicit-def: $vgpr60
	s_and_saveexec_b64 s[54:55], s[40:41]
	s_xor_b64 s[40:41], exec, s[54:55]
	s_cbranch_execz .LBB31_36
; %bb.35:                               ;   in Loop: Header=BB31_22 Depth=1
	v_add_f32_e64 v60, |v37|, |v37|
	v_mul_f32_e32 v61, 0x3fb8aa3b, v60
	v_rndne_f32_e32 v62, v61
	v_sub_f32_e32 v63, v61, v62
	v_fma_f32 v61, v60, s43, -v61
	v_fmac_f32_e32 v61, 0x32a5705f, v60
	v_add_f32_e32 v61, v63, v61
	v_cvt_i32_f32_e32 v62, v62
	v_exp_f32_e32 v61, v61
	v_cmp_ngt_f32_e32 vcc, s46, v60
	v_ldexp_f32 v61, v61, v62
	s_nop 0
	v_cndmask_b32_e32 v61, 0, v61, vcc
	v_cmp_nlt_f32_e32 vcc, s47, v60
	s_nop 1
	v_cndmask_b32_e32 v60, v158, v61, vcc
	v_add_f32_e32 v60, 1.0, v60
	v_rcp_f32_e32 v60, v60
	s_nop 0
	v_fma_f32 v60, v60, -2.0, 1.0
.LBB31_36:                              ;   in Loop: Header=BB31_22 Depth=1
	s_andn2_saveexec_b64 s[40:41], s[40:41]
; %bb.37:                               ;   in Loop: Header=BB31_22 Depth=1
	v_mul_f32_e32 v60, v37, v37
	v_fmamk_f32 v61, v60, 0xbbbac73d, v103
	v_fmaak_f32 v61, v60, v61, 0xbd5c1c4e
	v_fmaak_f32 v61, v60, v61, 0x3e088382
	;; [unrolled: 1-line block ×3, first 2 shown]
	v_mul_f32_e64 v61, |v37|, v61
	v_fma_f32 v60, v60, v61, |v37|
; %bb.38:                               ;   in Loop: Header=BB31_22 Depth=1
	s_or_b64 exec, exec, s[40:41]
	v_bfi_b32 v37, s52, v60, v37
	s_and_b64 vcc, exec, s[12:13]
	v_mul_f32_e32 v37, s23, v37
	s_cbranch_vccnz .LBB31_40
; %bb.39:                               ;   in Loop: Header=BB31_22 Depth=1
	global_load_ushort v60, v36, s[28:29] offset:2
	s_waitcnt vmcnt(0)
	v_fma_mix_f32 v37, v149, v60, v37 op_sel_hi:[0,1,0]
.LBB31_40:                              ;   in Loop: Header=BB31_22 Depth=1
	v_mov_b32_e32 v60, 0
	v_dot4c_i32_i8_e32 v60, v57, v86
	v_cvt_f32_f16_e32 v42, v42
	v_cvt_f32_f16_e32 v43, v43
	;; [unrolled: 1-line block ×3, first 2 shown]
	v_cvt_f32_i32_e32 v57, v60
	v_mov_b32_e32 v60, 0
	v_dot4c_i32_i8_e32 v60, v59, v87
	v_cvt_f32_f16_e32 v46, v46
	v_fma_f32 v57, v16, v57, -v17
	v_fma_f32 v57, v57, v42, 0
	v_cvt_f32_i32_e32 v59, v60
	v_mov_b32_e32 v60, 0
	v_dot4c_i32_i8_e32 v60, v54, v88
	v_cvt_f32_f16_e32 v48, v48
	v_fma_f32 v59, v16, v59, -v17
	v_fmac_f32_e32 v57, v59, v42
	v_cvt_f32_i32_e32 v54, v60
	v_mov_b32_e32 v60, 0
	v_dot4c_i32_i8_e32 v60, v56, v89
	v_cvt_f32_f16_e32 v49, v49
	v_fma_f32 v42, v18, v54, -v19
	v_mov_b32_e32 v54, 0
	v_cvt_f32_i32_e32 v56, v60
	v_dot4c_i32_i8_e32 v54, v52, v90
	v_fmac_f32_e32 v57, v42, v43
	v_cvt_f32_f16_e32 v58, v58
	v_fma_f32 v42, v18, v56, -v19
	v_cvt_f32_i32_e32 v52, v54
	v_mov_b32_e32 v54, 0
	v_dot4c_i32_i8_e32 v54, v53, v91
	v_fmac_f32_e32 v57, v42, v43
	v_mov_b32_e32 v43, 0
	v_dot4c_i32_i8_e32 v43, v50, v92
	v_cvt_f32_i32_e32 v53, v54
	v_fma_f32 v42, v20, v52, -v21
	v_fmac_f32_e32 v57, v42, v44
	v_cvt_f32_i32_e32 v43, v43
	v_fma_f32 v42, v20, v53, -v21
	v_mov_b32_e32 v50, 0
	v_dot4c_i32_i8_e32 v50, v51, v93
	v_fmac_f32_e32 v57, v42, v44
	v_fma_f32 v42, v22, v43, -v23
	v_mov_b32_e32 v43, 0
	v_cvt_f32_i32_e32 v50, v50
	v_dot4c_i32_i8_e32 v43, v45, v94
	v_fmac_f32_e32 v57, v42, v46
	v_mov_b32_e32 v44, 0
	v_fma_f32 v42, v22, v50, -v23
	v_cvt_f32_i32_e32 v43, v43
	v_fmac_f32_e32 v57, v42, v46
	v_dot4c_i32_i8_e32 v44, v47, v95
	v_cvt_f32_f16_e32 v55, v55
	v_fma_f32 v42, v24, v43, -v25
	v_mov_b32_e32 v43, 0
	v_dot4c_i32_i8_e32 v43, v40, v96
	v_cvt_f32_i32_e32 v44, v44
	v_fmac_f32_e32 v57, v42, v48
	v_fma_f32 v42, v24, v44, -v25
	v_cvt_f32_i32_e32 v40, v43
	v_mov_b32_e32 v43, 0
	v_dot4c_i32_i8_e32 v43, v41, v97
	v_fmac_f32_e32 v57, v42, v48
	v_fma_f32 v40, v26, v40, -v27
	v_fmac_f32_e32 v57, v40, v49
	v_cvt_f32_i32_e32 v41, v43
	v_fma_f32 v40, v26, v41, -v27
	v_mov_b32_e32 v41, 0
	v_dot4c_i32_i8_e32 v41, v38, v98
	v_fmac_f32_e32 v57, v40, v49
	s_nop 1
	v_cvt_f32_i32_e32 v38, v41
	v_mov_b32_e32 v41, 0
	v_dot4c_i32_i8_e32 v41, v39, v99
	v_fma_f32 v38, v28, v38, -v29
	v_fmac_f32_e32 v57, v38, v58
	s_nop 0
	v_cvt_f32_i32_e32 v39, v41
	v_fma_f32 v38, v28, v39, -v29
	v_mov_b32_e32 v39, 0
	v_dot4c_i32_i8_e32 v39, v32, v100
	v_fmac_f32_e32 v57, v38, v58
	s_nop 1
	v_cvt_f32_i32_e32 v32, v39
	v_mov_b32_e32 v39, 0
	v_dot4c_i32_i8_e32 v39, v33, v101
	v_fma_f32 v32, v30, v32, -v31
	v_fmac_f32_e32 v57, v32, v55
	s_nop 0
	v_cvt_f32_i32_e32 v33, v39
	v_fma_f32 v32, v30, v33, -v31
	v_fmac_f32_e32 v57, v32, v55
	ds_bpermute_b32 v32, v151, v57
	s_waitcnt lgkmcnt(0)
	v_add_f32_e32 v32, v57, v32
	ds_bpermute_b32 v33, v152, v32
	s_waitcnt lgkmcnt(0)
	v_add_f32_e32 v32, v32, v33
	v_cmp_nlt_f32_e64 s[40:41], |v32|, s42
                                        ; implicit-def: $vgpr33
	s_and_saveexec_b64 s[54:55], s[40:41]
	s_xor_b64 s[40:41], exec, s[54:55]
	s_cbranch_execz .LBB31_42
; %bb.41:                               ;   in Loop: Header=BB31_22 Depth=1
	v_add_f32_e64 v33, |v32|, |v32|
	v_mul_f32_e32 v38, 0x3fb8aa3b, v33
	v_rndne_f32_e32 v39, v38
	v_sub_f32_e32 v40, v38, v39
	v_fma_f32 v38, v33, s43, -v38
	v_fmac_f32_e32 v38, 0x32a5705f, v33
	v_add_f32_e32 v38, v40, v38
	v_cvt_i32_f32_e32 v39, v39
	v_exp_f32_e32 v38, v38
	v_cmp_ngt_f32_e32 vcc, s46, v33
	v_ldexp_f32 v38, v38, v39
	s_nop 0
	v_cndmask_b32_e32 v38, 0, v38, vcc
	v_cmp_nlt_f32_e32 vcc, s47, v33
	s_nop 1
	v_cndmask_b32_e32 v33, v158, v38, vcc
	v_add_f32_e32 v33, 1.0, v33
	v_rcp_f32_e32 v33, v33
	s_nop 0
	v_fma_f32 v33, v33, -2.0, 1.0
.LBB31_42:                              ;   in Loop: Header=BB31_22 Depth=1
	s_andn2_saveexec_b64 s[40:41], s[40:41]
; %bb.43:                               ;   in Loop: Header=BB31_22 Depth=1
	v_mul_f32_e32 v33, v32, v32
	v_fmamk_f32 v38, v33, 0xbbbac73d, v103
	v_fmaak_f32 v38, v33, v38, 0xbd5c1c4e
	v_fmaak_f32 v38, v33, v38, 0x3e088382
	v_fmaak_f32 v38, v33, v38, 0xbeaaaa99
	v_mul_f32_e64 v38, |v32|, v38
	v_fma_f32 v33, v33, v38, |v32|
; %bb.44:                               ;   in Loop: Header=BB31_22 Depth=1
	s_or_b64 exec, exec, s[40:41]
	v_bfi_b32 v32, s52, v33, v32
	v_mul_f32_e32 v38, s23, v32
	s_and_b64 vcc, exec, s[14:15]
	v_lshl_add_u64 v[32:33], v[134:135], 1, s[28:29]
	s_cbranch_vccnz .LBB31_46
; %bb.45:                               ;   in Loop: Header=BB31_22 Depth=1
	global_load_ushort v39, v[32:33], off offset:2
	s_waitcnt vmcnt(0)
	v_fma_mix_f32 v38, v149, v39, v38 op_sel_hi:[0,1,0]
.LBB31_46:                              ;   in Loop: Header=BB31_22 Depth=1
	v_lshl_add_u64 v[40:41], s[34:35], 0, v[114:115]
	v_lshl_add_u64 v[42:43], v[40:41], 0, v[104:105]
	global_load_dword v39, v[42:43], off offset:2
	global_load_dword v44, v[42:43], off offset:20
	;; [unrolled: 1-line block ×7, first 2 shown]
	s_nop 0
	global_load_dword v43, v[42:43], off offset:128
	s_nop 0
	global_load_ushort v46, v[40:41], off
	global_load_ushort v47, v[40:41], off offset:18
	global_load_ushort v48, v[40:41], off offset:36
	;; [unrolled: 1-line block ×7, first 2 shown]
	v_mov_b32_e32 v64, 0
	v_mov_b32_e32 v65, 0
	;; [unrolled: 1-line block ×12, first 2 shown]
	s_waitcnt vmcnt(15)
	v_and_b32_e32 v61, 0xf0f0f0f, v39
	v_lshrrev_b32_e32 v39, 4, v39
	v_and_b32_e32 v63, 0xf0f0f0f, v39
	v_dot4c_i32_i8_e32 v64, v61, v70
	s_waitcnt vmcnt(14)
	v_and_b32_e32 v58, 0xf0f0f0f, v44
	v_lshrrev_b32_e32 v41, 4, v44
	v_dot4c_i32_i8_e32 v65, v63, v71
	v_cvt_f32_i32_e32 v39, v64
	v_and_b32_e32 v60, 0xf0f0f0f, v41
	v_dot4c_i32_i8_e32 v66, v58, v72
	v_cvt_f32_i32_e32 v65, v65
	s_waitcnt vmcnt(13)
	v_and_b32_e32 v56, 0xf0f0f0f, v45
	v_lshrrev_b32_e32 v45, 4, v45
	v_cvt_f32_i32_e32 v64, v66
	v_dot4c_i32_i8_e32 v67, v60, v73
	s_waitcnt vmcnt(9)
	v_and_b32_e32 v42, 0xf0f0f0f, v57
	v_lshrrev_b32_e32 v165, 4, v57
	v_and_b32_e32 v57, 0xf0f0f0f, v45
	v_dot4c_i32_i8_e32 v138, v56, v74
	v_cvt_f32_i32_e32 v67, v67
	v_and_b32_e32 v54, 0xf0f0f0f, v49
	v_lshrrev_b32_e32 v163, 4, v49
	v_cvt_f32_i32_e32 v66, v138
	v_dot4c_i32_i8_e32 v139, v57, v75
	v_fma_f32 v39, v0, v39, -v1
	v_and_b32_e32 v44, 0xf0f0f0f, v55
	v_lshrrev_b32_e32 v164, 4, v55
	v_and_b32_e32 v55, 0xf0f0f0f, v163
	v_dot4c_i32_i8_e32 v142, v54, v76
	v_cvt_f32_i32_e32 v139, v139
	s_waitcnt vmcnt(7)
	v_fma_mix_f32 v39, v39, v46, 0 op_sel_hi:[0,1,0]
	v_fma_f32 v65, v0, v65, -v1
	v_and_b32_e32 v49, 0xf0f0f0f, v51
	v_lshrrev_b32_e32 v51, 4, v51
	v_cvt_f32_i32_e32 v138, v142
	v_dot4c_i32_i8_e32 v143, v55, v77
	v_fma_f32 v64, v2, v64, -v3
	v_fma_mix_f32 v39, v65, v46, v39 op_sel_hi:[0,1,0]
	v_and_b32_e32 v51, 0xf0f0f0f, v51
	v_dot4c_i32_i8_e32 v159, v49, v78
	v_cvt_f32_i32_e32 v143, v143
	v_fma_f32 v67, v2, v67, -v3
	s_waitcnt vmcnt(6)
	v_fma_mix_f32 v39, v64, v47, v39 op_sel_hi:[0,1,0]
	v_cvt_f32_i32_e32 v142, v159
	v_dot4c_i32_i8_e32 v160, v51, v79
	v_fma_f32 v66, v4, v66, -v5
	v_fma_mix_f32 v39, v67, v47, v39 op_sel_hi:[0,1,0]
	v_and_b32_e32 v45, 0xf0f0f0f, v164
	v_dot4c_i32_i8_e32 v161, v44, v80
	v_cvt_f32_i32_e32 v160, v160
	v_fma_f32 v139, v4, v139, -v5
	s_waitcnt vmcnt(5)
	v_fma_mix_f32 v39, v66, v48, v39 op_sel_hi:[0,1,0]
	v_cvt_f32_i32_e32 v159, v161
	v_dot4c_i32_i8_e32 v162, v45, v81
	v_fma_f32 v138, v6, v138, -v7
	v_fma_mix_f32 v39, v139, v48, v39 op_sel_hi:[0,1,0]
	v_mov_b32_e32 v65, 0
	v_and_b32_e32 v40, 0xf0f0f0f, v43
	v_lshrrev_b32_e32 v166, 4, v43
	v_and_b32_e32 v43, 0xf0f0f0f, v165
	v_cvt_f32_i32_e32 v161, v162
	v_fma_f32 v143, v6, v143, -v7
	s_waitcnt vmcnt(4)
	v_fma_mix_f32 v39, v138, v50, v39 op_sel_hi:[0,1,0]
	v_dot4c_i32_i8_e32 v65, v42, v82
	v_mov_b32_e32 v66, 0
	v_fma_f32 v142, v8, v142, -v9
	v_fma_mix_f32 v39, v143, v50, v39 op_sel_hi:[0,1,0]
	v_cvt_f32_i32_e32 v65, v65
	v_dot4c_i32_i8_e32 v66, v43, v83
	v_fma_f32 v160, v8, v160, -v9
	s_waitcnt vmcnt(3)
	v_fma_mix_f32 v39, v142, v52, v39 op_sel_hi:[0,1,0]
	v_fma_f32 v159, v10, v159, -v11
	v_cvt_f32_i32_e32 v66, v66
	v_fma_mix_f32 v39, v160, v52, v39 op_sel_hi:[0,1,0]
	s_waitcnt vmcnt(2)
	v_fma_mix_f32 v39, v159, v53, v39 op_sel_hi:[0,1,0]
	v_fma_f32 v64, v10, v161, -v11
	v_fma_mix_f32 v39, v64, v53, v39 op_sel_hi:[0,1,0]
	v_fma_f32 v64, v12, v65, -v13
	v_mov_b32_e32 v65, 0
	v_and_b32_e32 v41, 0xf0f0f0f, v166
	s_waitcnt vmcnt(1)
	v_fma_mix_f32 v39, v64, v62, v39 op_sel_hi:[0,1,0]
	v_fma_f32 v64, v12, v66, -v13
	v_dot4c_i32_i8_e32 v65, v40, v84
	v_mov_b32_e32 v66, 0
	v_dot4c_i32_i8_e32 v66, v41, v85
	v_fma_mix_f32 v39, v64, v62, v39 op_sel_hi:[0,1,0]
	v_cvt_f32_i32_e32 v65, v65
	v_fma_f32 v64, v14, v65, -v15
	v_cvt_f32_i32_e32 v66, v66
	s_waitcnt vmcnt(0)
	v_fma_mix_f32 v39, v64, v59, v39 op_sel_hi:[0,1,0]
	v_fma_f32 v64, v14, v66, -v15
	v_fma_mix_f32 v39, v64, v59, v39 op_sel_hi:[0,1,0]
	ds_bpermute_b32 v64, v151, v39
	s_waitcnt lgkmcnt(0)
	v_add_f32_e32 v39, v39, v64
	ds_bpermute_b32 v64, v152, v39
	s_waitcnt lgkmcnt(0)
	v_add_f32_e32 v39, v39, v64
	v_cmp_nlt_f32_e64 s[40:41], |v39|, s42
                                        ; implicit-def: $vgpr64
	s_and_saveexec_b64 s[54:55], s[40:41]
	s_xor_b64 s[40:41], exec, s[54:55]
	s_cbranch_execz .LBB31_48
; %bb.47:                               ;   in Loop: Header=BB31_22 Depth=1
	v_add_f32_e64 v64, |v39|, |v39|
	v_mul_f32_e32 v65, 0x3fb8aa3b, v64
	v_rndne_f32_e32 v66, v65
	v_sub_f32_e32 v67, v65, v66
	v_fma_f32 v65, v64, s43, -v65
	v_fmac_f32_e32 v65, 0x32a5705f, v64
	v_add_f32_e32 v65, v67, v65
	v_cvt_i32_f32_e32 v66, v66
	v_exp_f32_e32 v65, v65
	v_cmp_ngt_f32_e32 vcc, s46, v64
	v_ldexp_f32 v65, v65, v66
	s_nop 0
	v_cndmask_b32_e32 v65, 0, v65, vcc
	v_cmp_nlt_f32_e32 vcc, s47, v64
	s_nop 1
	v_cndmask_b32_e32 v64, v158, v65, vcc
	v_add_f32_e32 v64, 1.0, v64
	v_rcp_f32_e32 v64, v64
	s_nop 0
	v_fma_f32 v64, v64, -2.0, 1.0
.LBB31_48:                              ;   in Loop: Header=BB31_22 Depth=1
	s_andn2_saveexec_b64 s[40:41], s[40:41]
; %bb.49:                               ;   in Loop: Header=BB31_22 Depth=1
	v_mul_f32_e32 v64, v39, v39
	v_fmamk_f32 v65, v64, 0xbbbac73d, v103
	v_fmaak_f32 v65, v64, v65, 0xbd5c1c4e
	v_fmaak_f32 v65, v64, v65, 0x3e088382
	;; [unrolled: 1-line block ×3, first 2 shown]
	v_mul_f32_e64 v65, |v39|, v65
	v_fma_f32 v64, v64, v65, |v39|
; %bb.50:                               ;   in Loop: Header=BB31_22 Depth=1
	s_or_b64 exec, exec, s[40:41]
	v_bfi_b32 v39, s52, v64, v39
	s_and_b64 vcc, exec, s[12:13]
	v_mul_f32_e32 v39, s23, v39
	s_cbranch_vccnz .LBB31_52
; %bb.51:                               ;   in Loop: Header=BB31_22 Depth=1
	global_load_ushort v64, v36, s[28:29] offset:4
	s_waitcnt vmcnt(0)
	v_fma_mix_f32 v39, v149, v64, v39 op_sel_hi:[0,1,0]
.LBB31_52:                              ;   in Loop: Header=BB31_22 Depth=1
	v_mov_b32_e32 v64, 0
	v_dot4c_i32_i8_e32 v64, v61, v86
	v_cvt_f32_f16_e32 v46, v46
	v_cvt_f32_f16_e32 v47, v47
	v_cvt_f32_f16_e32 v48, v48
	v_cvt_f32_i32_e32 v61, v64
	v_mov_b32_e32 v64, 0
	v_dot4c_i32_i8_e32 v64, v63, v87
	v_cvt_f32_f16_e32 v50, v50
	v_fma_f32 v61, v16, v61, -v17
	v_fma_f32 v61, v61, v46, 0
	v_cvt_f32_i32_e32 v63, v64
	v_mov_b32_e32 v64, 0
	v_dot4c_i32_i8_e32 v64, v58, v88
	v_cvt_f32_f16_e32 v52, v52
	v_fma_f32 v63, v16, v63, -v17
	v_fmac_f32_e32 v61, v63, v46
	v_cvt_f32_i32_e32 v58, v64
	v_mov_b32_e32 v64, 0
	v_dot4c_i32_i8_e32 v64, v60, v89
	v_cvt_f32_f16_e32 v53, v53
	v_fma_f32 v46, v18, v58, -v19
	v_mov_b32_e32 v58, 0
	v_cvt_f32_i32_e32 v60, v64
	v_dot4c_i32_i8_e32 v58, v56, v90
	v_fmac_f32_e32 v61, v46, v47
	v_cvt_f32_f16_e32 v62, v62
	v_fma_f32 v46, v18, v60, -v19
	v_cvt_f32_i32_e32 v56, v58
	v_mov_b32_e32 v58, 0
	v_dot4c_i32_i8_e32 v58, v57, v91
	v_fmac_f32_e32 v61, v46, v47
	v_mov_b32_e32 v47, 0
	v_dot4c_i32_i8_e32 v47, v54, v92
	v_cvt_f32_i32_e32 v57, v58
	v_fma_f32 v46, v20, v56, -v21
	v_fmac_f32_e32 v61, v46, v48
	v_cvt_f32_i32_e32 v47, v47
	v_fma_f32 v46, v20, v57, -v21
	v_mov_b32_e32 v54, 0
	v_dot4c_i32_i8_e32 v54, v55, v93
	v_fmac_f32_e32 v61, v46, v48
	v_fma_f32 v46, v22, v47, -v23
	v_mov_b32_e32 v47, 0
	v_cvt_f32_i32_e32 v54, v54
	v_dot4c_i32_i8_e32 v47, v49, v94
	v_fmac_f32_e32 v61, v46, v50
	v_mov_b32_e32 v48, 0
	v_fma_f32 v46, v22, v54, -v23
	v_cvt_f32_i32_e32 v47, v47
	v_fmac_f32_e32 v61, v46, v50
	v_dot4c_i32_i8_e32 v48, v51, v95
	v_cvt_f32_f16_e32 v59, v59
	v_fma_f32 v46, v24, v47, -v25
	v_mov_b32_e32 v47, 0
	v_dot4c_i32_i8_e32 v47, v44, v96
	v_cvt_f32_i32_e32 v48, v48
	v_fmac_f32_e32 v61, v46, v52
	v_fma_f32 v46, v24, v48, -v25
	v_cvt_f32_i32_e32 v44, v47
	v_mov_b32_e32 v47, 0
	v_dot4c_i32_i8_e32 v47, v45, v97
	v_fmac_f32_e32 v61, v46, v52
	v_fma_f32 v44, v26, v44, -v27
	v_fmac_f32_e32 v61, v44, v53
	v_cvt_f32_i32_e32 v45, v47
	v_fma_f32 v44, v26, v45, -v27
	v_mov_b32_e32 v45, 0
	v_dot4c_i32_i8_e32 v45, v42, v98
	v_fmac_f32_e32 v61, v44, v53
	s_nop 1
	v_cvt_f32_i32_e32 v42, v45
	v_mov_b32_e32 v45, 0
	v_dot4c_i32_i8_e32 v45, v43, v99
	v_fma_f32 v42, v28, v42, -v29
	v_fmac_f32_e32 v61, v42, v62
	s_nop 0
	v_cvt_f32_i32_e32 v43, v45
	v_fma_f32 v42, v28, v43, -v29
	v_mov_b32_e32 v43, 0
	v_dot4c_i32_i8_e32 v43, v40, v100
	v_fmac_f32_e32 v61, v42, v62
	s_nop 1
	v_cvt_f32_i32_e32 v40, v43
	v_mov_b32_e32 v43, 0
	v_dot4c_i32_i8_e32 v43, v41, v101
	v_fma_f32 v40, v30, v40, -v31
	v_fmac_f32_e32 v61, v40, v59
	s_nop 0
	v_cvt_f32_i32_e32 v41, v43
	v_fma_f32 v40, v30, v41, -v31
	v_fmac_f32_e32 v61, v40, v59
	ds_bpermute_b32 v40, v151, v61
	s_waitcnt lgkmcnt(0)
	v_add_f32_e32 v40, v61, v40
	ds_bpermute_b32 v41, v152, v40
	s_waitcnt lgkmcnt(0)
	v_add_f32_e32 v40, v40, v41
	v_cmp_nlt_f32_e64 s[40:41], |v40|, s42
                                        ; implicit-def: $vgpr41
	s_and_saveexec_b64 s[54:55], s[40:41]
	s_xor_b64 s[40:41], exec, s[54:55]
	s_cbranch_execz .LBB31_54
; %bb.53:                               ;   in Loop: Header=BB31_22 Depth=1
	v_add_f32_e64 v41, |v40|, |v40|
	v_mul_f32_e32 v42, 0x3fb8aa3b, v41
	v_rndne_f32_e32 v43, v42
	v_sub_f32_e32 v44, v42, v43
	v_fma_f32 v42, v41, s43, -v42
	v_fmac_f32_e32 v42, 0x32a5705f, v41
	v_add_f32_e32 v42, v44, v42
	v_cvt_i32_f32_e32 v43, v43
	v_exp_f32_e32 v42, v42
	v_cmp_ngt_f32_e32 vcc, s46, v41
	v_ldexp_f32 v42, v42, v43
	s_nop 0
	v_cndmask_b32_e32 v42, 0, v42, vcc
	v_cmp_nlt_f32_e32 vcc, s47, v41
	s_nop 1
	v_cndmask_b32_e32 v41, v158, v42, vcc
	v_add_f32_e32 v41, 1.0, v41
	v_rcp_f32_e32 v41, v41
	s_nop 0
	v_fma_f32 v41, v41, -2.0, 1.0
.LBB31_54:                              ;   in Loop: Header=BB31_22 Depth=1
	s_andn2_saveexec_b64 s[40:41], s[40:41]
; %bb.55:                               ;   in Loop: Header=BB31_22 Depth=1
	v_mul_f32_e32 v41, v40, v40
	v_fmamk_f32 v42, v41, 0xbbbac73d, v103
	v_fmaak_f32 v42, v41, v42, 0xbd5c1c4e
	v_fmaak_f32 v42, v41, v42, 0x3e088382
	;; [unrolled: 1-line block ×3, first 2 shown]
	v_mul_f32_e64 v42, |v40|, v42
	v_fma_f32 v41, v41, v42, |v40|
; %bb.56:                               ;   in Loop: Header=BB31_22 Depth=1
	s_or_b64 exec, exec, s[40:41]
	v_bfi_b32 v40, s52, v41, v40
	s_and_b64 vcc, exec, s[14:15]
	v_mul_f32_e32 v40, s23, v40
	s_cbranch_vccnz .LBB31_58
; %bb.57:                               ;   in Loop: Header=BB31_22 Depth=1
	global_load_ushort v41, v[32:33], off offset:4
	s_waitcnt vmcnt(0)
	v_fma_mix_f32 v40, v149, v41, v40 op_sel_hi:[0,1,0]
.LBB31_58:                              ;   in Loop: Header=BB31_22 Depth=1
	v_lshl_add_u64 v[42:43], s[34:35], 0, v[116:117]
	v_lshl_add_u64 v[44:45], v[42:43], 0, v[104:105]
	global_load_dword v41, v[44:45], off offset:2
	global_load_dword v46, v[44:45], off offset:20
	;; [unrolled: 1-line block ×7, first 2 shown]
	s_nop 0
	global_load_dword v44, v[44:45], off offset:128
	s_nop 0
	global_load_ushort v47, v[42:43], off
	global_load_ushort v48, v[42:43], off offset:18
	global_load_ushort v49, v[42:43], off offset:36
	;; [unrolled: 1-line block ×7, first 2 shown]
	v_mov_b32_e32 v66, 0
	v_mov_b32_e32 v67, 0
	;; [unrolled: 1-line block ×12, first 2 shown]
	s_waitcnt vmcnt(15)
	v_and_b32_e32 v63, 0xf0f0f0f, v41
	v_lshrrev_b32_e32 v42, 4, v41
	v_and_b32_e32 v65, 0xf0f0f0f, v42
	s_waitcnt vmcnt(12)
	v_and_b32_e32 v56, 0xf0f0f0f, v51
	v_lshrrev_b32_e32 v51, 4, v51
	v_dot4c_i32_i8_e32 v66, v63, v70
	v_and_b32_e32 v60, 0xf0f0f0f, v46
	v_lshrrev_b32_e32 v46, 4, v46
	s_waitcnt vmcnt(10)
	v_and_b32_e32 v45, 0xf0f0f0f, v57
	v_lshrrev_b32_e32 v166, 4, v57
	v_and_b32_e32 v57, 0xf0f0f0f, v51
	v_cvt_f32_i32_e32 v51, v66
	v_dot4c_i32_i8_e32 v67, v65, v71
	v_and_b32_e32 v62, 0xf0f0f0f, v46
	v_dot4c_i32_i8_e32 v138, v60, v72
	v_and_b32_e32 v58, 0xf0f0f0f, v50
	v_cvt_f32_i32_e32 v67, v67
	v_lshrrev_b32_e32 v165, 4, v50
	v_cvt_f32_i32_e32 v66, v138
	v_dot4c_i32_i8_e32 v139, v62, v73
	s_waitcnt vmcnt(9)
	v_and_b32_e32 v43, 0xf0f0f0f, v59
	v_lshrrev_b32_e32 v167, 4, v59
	v_and_b32_e32 v59, 0xf0f0f0f, v165
	v_dot4c_i32_i8_e32 v142, v58, v74
	v_cvt_f32_i32_e32 v139, v139
	v_dot4c_i32_i8_e32 v143, v59, v75
	v_fma_f32 v51, v0, v51, -v1
	v_cvt_f32_i32_e32 v138, v142
	v_dot4c_i32_i8_e32 v159, v56, v76
	v_cvt_f32_i32_e32 v143, v143
	s_waitcnt vmcnt(7)
	v_fma_mix_f32 v51, v51, v47, 0 op_sel_hi:[0,1,0]
	v_fma_f32 v67, v0, v67, -v1
	v_and_b32_e32 v50, 0xf0f0f0f, v53
	v_lshrrev_b32_e32 v53, 4, v53
	v_cvt_f32_i32_e32 v142, v159
	v_dot4c_i32_i8_e32 v160, v57, v77
	v_fma_f32 v66, v2, v66, -v3
	v_fma_mix_f32 v51, v67, v47, v51 op_sel_hi:[0,1,0]
	v_and_b32_e32 v53, 0xf0f0f0f, v53
	v_dot4c_i32_i8_e32 v161, v50, v78
	v_cvt_f32_i32_e32 v160, v160
	v_fma_f32 v139, v2, v139, -v3
	s_waitcnt vmcnt(6)
	v_fma_mix_f32 v51, v66, v48, v51 op_sel_hi:[0,1,0]
	v_cvt_f32_i32_e32 v159, v161
	v_dot4c_i32_i8_e32 v162, v53, v79
	v_fma_f32 v138, v4, v138, -v5
	v_fma_mix_f32 v51, v139, v48, v51 op_sel_hi:[0,1,0]
	v_and_b32_e32 v46, 0xf0f0f0f, v166
	v_dot4c_i32_i8_e32 v163, v45, v80
	v_cvt_f32_i32_e32 v162, v162
	v_fma_f32 v143, v4, v143, -v5
	s_waitcnt vmcnt(5)
	v_fma_mix_f32 v51, v138, v49, v51 op_sel_hi:[0,1,0]
	v_cvt_f32_i32_e32 v161, v163
	v_dot4c_i32_i8_e32 v164, v46, v81
	v_fma_f32 v142, v6, v142, -v7
	v_fma_mix_f32 v51, v143, v49, v51 op_sel_hi:[0,1,0]
	v_mov_b32_e32 v67, 0
	v_and_b32_e32 v41, 0xf0f0f0f, v44
	v_lshrrev_b32_e32 v168, 4, v44
	v_and_b32_e32 v44, 0xf0f0f0f, v167
	v_cvt_f32_i32_e32 v163, v164
	v_fma_f32 v160, v6, v160, -v7
	s_waitcnt vmcnt(4)
	v_fma_mix_f32 v51, v142, v52, v51 op_sel_hi:[0,1,0]
	v_dot4c_i32_i8_e32 v67, v43, v82
	v_mov_b32_e32 v138, 0
	v_fma_f32 v159, v8, v159, -v9
	v_fma_mix_f32 v51, v160, v52, v51 op_sel_hi:[0,1,0]
	v_cvt_f32_i32_e32 v67, v67
	v_dot4c_i32_i8_e32 v138, v44, v83
	v_fma_f32 v162, v8, v162, -v9
	s_waitcnt vmcnt(3)
	v_fma_mix_f32 v51, v159, v54, v51 op_sel_hi:[0,1,0]
	v_fma_f32 v161, v10, v161, -v11
	v_cvt_f32_i32_e32 v138, v138
	v_fma_mix_f32 v51, v162, v54, v51 op_sel_hi:[0,1,0]
	s_waitcnt vmcnt(2)
	v_fma_mix_f32 v51, v161, v55, v51 op_sel_hi:[0,1,0]
	v_fma_f32 v66, v10, v163, -v11
	v_fma_mix_f32 v51, v66, v55, v51 op_sel_hi:[0,1,0]
	v_fma_f32 v66, v12, v67, -v13
	v_mov_b32_e32 v67, 0
	v_and_b32_e32 v42, 0xf0f0f0f, v168
	s_waitcnt vmcnt(1)
	v_fma_mix_f32 v51, v66, v64, v51 op_sel_hi:[0,1,0]
	v_fma_f32 v66, v12, v138, -v13
	v_dot4c_i32_i8_e32 v67, v41, v84
	v_mov_b32_e32 v138, 0
	v_dot4c_i32_i8_e32 v138, v42, v85
	v_fma_mix_f32 v51, v66, v64, v51 op_sel_hi:[0,1,0]
	v_cvt_f32_i32_e32 v67, v67
	v_fma_f32 v66, v14, v67, -v15
	v_cvt_f32_i32_e32 v138, v138
	s_waitcnt vmcnt(0)
	v_fma_mix_f32 v51, v66, v61, v51 op_sel_hi:[0,1,0]
	v_fma_f32 v66, v14, v138, -v15
	v_fma_mix_f32 v51, v66, v61, v51 op_sel_hi:[0,1,0]
	ds_bpermute_b32 v66, v151, v51
	s_waitcnt lgkmcnt(0)
	v_add_f32_e32 v51, v51, v66
	ds_bpermute_b32 v66, v152, v51
	s_waitcnt lgkmcnt(0)
	v_add_f32_e32 v51, v51, v66
	v_cmp_nlt_f32_e64 s[40:41], |v51|, s42
                                        ; implicit-def: $vgpr66
	s_and_saveexec_b64 s[54:55], s[40:41]
	s_xor_b64 s[40:41], exec, s[54:55]
	s_cbranch_execz .LBB31_60
; %bb.59:                               ;   in Loop: Header=BB31_22 Depth=1
	v_add_f32_e64 v66, |v51|, |v51|
	v_mul_f32_e32 v67, 0x3fb8aa3b, v66
	v_rndne_f32_e32 v138, v67
	v_sub_f32_e32 v139, v67, v138
	v_fma_f32 v67, v66, s43, -v67
	v_fmac_f32_e32 v67, 0x32a5705f, v66
	v_add_f32_e32 v67, v139, v67
	v_cvt_i32_f32_e32 v138, v138
	v_exp_f32_e32 v67, v67
	v_cmp_ngt_f32_e32 vcc, s46, v66
	v_ldexp_f32 v67, v67, v138
	s_nop 0
	v_cndmask_b32_e32 v67, 0, v67, vcc
	v_cmp_nlt_f32_e32 vcc, s47, v66
	s_nop 1
	v_cndmask_b32_e32 v66, v158, v67, vcc
	v_add_f32_e32 v66, 1.0, v66
	v_rcp_f32_e32 v66, v66
	s_nop 0
	v_fma_f32 v66, v66, -2.0, 1.0
.LBB31_60:                              ;   in Loop: Header=BB31_22 Depth=1
	s_andn2_saveexec_b64 s[40:41], s[40:41]
; %bb.61:                               ;   in Loop: Header=BB31_22 Depth=1
	v_mul_f32_e32 v66, v51, v51
	v_fmamk_f32 v67, v66, 0xbbbac73d, v103
	v_fmaak_f32 v67, v66, v67, 0xbd5c1c4e
	v_fmaak_f32 v67, v66, v67, 0x3e088382
	;; [unrolled: 1-line block ×3, first 2 shown]
	v_mul_f32_e64 v67, |v51|, v67
	v_fma_f32 v66, v66, v67, |v51|
; %bb.62:                               ;   in Loop: Header=BB31_22 Depth=1
	s_or_b64 exec, exec, s[40:41]
	v_bfi_b32 v51, s52, v66, v51
	s_and_b64 vcc, exec, s[12:13]
	v_mul_f32_e32 v51, s23, v51
	s_cbranch_vccnz .LBB31_64
; %bb.63:                               ;   in Loop: Header=BB31_22 Depth=1
	global_load_ushort v36, v36, s[28:29] offset:6
	s_waitcnt vmcnt(0)
	v_fma_mix_f32 v51, v149, v36, v51 op_sel_hi:[0,1,0]
.LBB31_64:                              ;   in Loop: Header=BB31_22 Depth=1
	v_cvt_f32_f16_e32 v36, v47
	v_cvt_f32_f16_e32 v47, v48
	;; [unrolled: 1-line block ×7, first 2 shown]
	v_mov_b32_e32 v64, 0
	v_dot4c_i32_i8_e32 v64, v63, v86
	v_cvt_f32_f16_e32 v61, v61
	s_nop 1
	v_cvt_f32_i32_e32 v63, v64
	v_mov_b32_e32 v64, 0
	v_dot4c_i32_i8_e32 v64, v65, v87
	v_mov_b32_e32 v65, 0
	v_dot4c_i32_i8_e32 v65, v60, v88
	v_fma_f32 v63, v16, v63, -v17
	v_cvt_f32_i32_e32 v64, v64
	v_fma_f32 v63, v63, v36, 0
	v_cvt_f32_i32_e32 v60, v65
	v_mov_b32_e32 v65, 0
	v_dot4c_i32_i8_e32 v65, v62, v89
	v_fma_f32 v64, v16, v64, -v17
	v_fmac_f32_e32 v63, v64, v36
	v_fma_f32 v36, v18, v60, -v19
	v_cvt_f32_i32_e32 v62, v65
	v_mov_b32_e32 v60, 0
	v_dot4c_i32_i8_e32 v60, v58, v90
	v_fmac_f32_e32 v63, v36, v47
	v_fma_f32 v36, v18, v62, -v19
	v_fmac_f32_e32 v63, v36, v47
	v_cvt_f32_i32_e32 v58, v60
	v_mov_b32_e32 v60, 0
	v_dot4c_i32_i8_e32 v60, v59, v91
	v_mov_b32_e32 v47, 0
	v_dot4c_i32_i8_e32 v47, v56, v92
	v_fma_f32 v36, v20, v58, -v21
	v_cvt_f32_i32_e32 v59, v60
	v_fmac_f32_e32 v63, v36, v48
	v_cvt_f32_i32_e32 v47, v47
	v_mov_b32_e32 v56, 0
	v_fma_f32 v36, v20, v59, -v21
	v_dot4c_i32_i8_e32 v56, v57, v93
	v_fmac_f32_e32 v63, v36, v48
	v_fma_f32 v36, v22, v47, -v23
	v_mov_b32_e32 v47, 0
	v_cvt_f32_i32_e32 v56, v56
	v_dot4c_i32_i8_e32 v47, v50, v94
	v_fmac_f32_e32 v63, v36, v49
	v_mov_b32_e32 v48, 0
	v_fma_f32 v36, v22, v56, -v23
	v_cvt_f32_i32_e32 v47, v47
	v_dot4c_i32_i8_e32 v48, v53, v95
	v_fmac_f32_e32 v63, v36, v49
	v_fma_f32 v36, v24, v47, -v25
	v_mov_b32_e32 v47, 0
	v_cvt_f32_i32_e32 v48, v48
	v_dot4c_i32_i8_e32 v47, v45, v96
	v_fmac_f32_e32 v63, v36, v52
	v_fma_f32 v36, v24, v48, -v25
	s_nop 0
	v_cvt_f32_i32_e32 v45, v47
	v_mov_b32_e32 v47, 0
	v_dot4c_i32_i8_e32 v47, v46, v97
	v_fmac_f32_e32 v63, v36, v52
	v_fma_f32 v36, v26, v45, -v27
	v_mov_b32_e32 v45, 0
	v_cvt_f32_i32_e32 v46, v47
	v_dot4c_i32_i8_e32 v45, v43, v98
	v_fmac_f32_e32 v63, v36, v54
	v_fma_f32 v36, v26, v46, -v27
	s_nop 0
	v_cvt_f32_i32_e32 v43, v45
	v_mov_b32_e32 v45, 0
	v_fmac_f32_e32 v63, v36, v54
	v_dot4c_i32_i8_e32 v45, v44, v99
	v_fma_f32 v36, v28, v43, -v29
	v_mov_b32_e32 v43, 0
	v_dot4c_i32_i8_e32 v43, v41, v100
	v_cvt_f32_i32_e32 v44, v45
	v_fmac_f32_e32 v63, v36, v55
	v_fma_f32 v36, v28, v44, -v29
	v_cvt_f32_i32_e32 v41, v43
	v_mov_b32_e32 v43, 0
	v_dot4c_i32_i8_e32 v43, v42, v101
	v_fmac_f32_e32 v63, v36, v55
	v_fma_f32 v36, v30, v41, -v31
	v_fmac_f32_e32 v63, v36, v61
	v_cvt_f32_i32_e32 v42, v43
	v_fma_f32 v36, v30, v42, -v31
	v_fmac_f32_e32 v63, v36, v61
	ds_bpermute_b32 v36, v151, v63
	s_waitcnt lgkmcnt(0)
	v_add_f32_e32 v36, v63, v36
	ds_bpermute_b32 v41, v152, v36
	s_waitcnt lgkmcnt(0)
	v_add_f32_e32 v36, v36, v41
	v_cmp_nlt_f32_e64 s[12:13], |v36|, s42
                                        ; implicit-def: $vgpr41
	s_and_saveexec_b64 s[40:41], s[12:13]
	s_xor_b64 s[12:13], exec, s[40:41]
	s_cbranch_execz .LBB31_66
; %bb.65:                               ;   in Loop: Header=BB31_22 Depth=1
	v_add_f32_e64 v41, |v36|, |v36|
	v_mul_f32_e32 v42, 0x3fb8aa3b, v41
	v_rndne_f32_e32 v43, v42
	v_sub_f32_e32 v44, v42, v43
	v_fma_f32 v42, v41, s43, -v42
	v_fmac_f32_e32 v42, 0x32a5705f, v41
	v_add_f32_e32 v42, v44, v42
	v_cvt_i32_f32_e32 v43, v43
	v_exp_f32_e32 v42, v42
	v_cmp_ngt_f32_e32 vcc, s46, v41
	v_ldexp_f32 v42, v42, v43
	s_nop 0
	v_cndmask_b32_e32 v42, 0, v42, vcc
	v_cmp_nlt_f32_e32 vcc, s47, v41
	s_nop 1
	v_cndmask_b32_e32 v41, v158, v42, vcc
	v_add_f32_e32 v41, 1.0, v41
	v_rcp_f32_e32 v41, v41
	s_nop 0
	v_fma_f32 v41, v41, -2.0, 1.0
.LBB31_66:                              ;   in Loop: Header=BB31_22 Depth=1
	s_andn2_saveexec_b64 s[12:13], s[12:13]
; %bb.67:                               ;   in Loop: Header=BB31_22 Depth=1
	v_mul_f32_e32 v41, v36, v36
	v_fmamk_f32 v42, v41, 0xbbbac73d, v103
	v_fmaak_f32 v42, v41, v42, 0xbd5c1c4e
	v_fmaak_f32 v42, v41, v42, 0x3e088382
	;; [unrolled: 1-line block ×3, first 2 shown]
	v_mul_f32_e64 v42, |v36|, v42
	v_fma_f32 v41, v41, v42, |v36|
; %bb.68:                               ;   in Loop: Header=BB31_22 Depth=1
	s_or_b64 exec, exec, s[12:13]
	v_bfi_b32 v36, s52, v41, v36
	s_and_b64 vcc, exec, s[14:15]
	v_mul_f32_e32 v36, s23, v36
	s_cbranch_vccnz .LBB31_21
; %bb.69:                               ;   in Loop: Header=BB31_22 Depth=1
	global_load_ushort v32, v[32:33], off offset:6
	s_waitcnt vmcnt(0)
	v_fma_mix_f32 v36, v149, v32, v36 op_sel_hi:[0,1,0]
	s_branch .LBB31_21
.LBB31_70:
	s_cmp_eq_u64 s[44:45], 0
	s_cselect_b64 s[4:5], -1, 0
	s_cmp_lg_u32 s3, 0
	s_cselect_b64 s[6:7], -1, 0
	s_or_b64 s[4:5], s[6:7], s[4:5]
	s_or_b64 s[4:5], s[16:17], s[4:5]
	s_xor_b64 s[4:5], s[4:5], -1
	s_and_saveexec_b64 s[8:9], s[4:5]
	s_cbranch_execz .LBB31_72
; %bb.71:
	v_lshlrev_b32_e32 v16, 6, v145
	scratch_load_dwordx4 v[0:3], v16, off
	scratch_load_dwordx4 v[4:7], v16, off offset:16
	scratch_load_dwordx4 v[8:11], v16, off offset:32
	;; [unrolled: 1-line block ×3, first 2 shown]
	s_ashr_i32 s21, s20, 31
	s_lshl_b64 s[4:5], s[20:21], 2
	s_add_u32 s4, s44, s4
	s_addc_u32 s5, s45, s5
	s_load_dword s4, s[4:5], 0x0
	v_cmp_eq_u32_e32 vcc, 1, v145
	s_mov_b32 s2, 0x3fb8aa3b
	s_mov_b32 s10, 0xc2ce8ed0
	v_cndmask_b32_e32 v17, v138, v139, vcc
	v_max_f32_e32 v19, v17, v17
	s_waitcnt lgkmcnt(0)
	v_max_f32_e64 v21, s4, s4
	v_max_f32_e32 v19, v21, v19
	v_sub_f32_e32 v17, v17, v19
	v_sub_f32_e32 v21, s4, v19
	v_mul_f32_e32 v22, 0x3fb8aa3b, v17
	v_mul_f32_e32 v23, 0x3fb8aa3b, v21
	v_fma_f32 v24, v17, s2, -v22
	v_rndne_f32_e32 v25, v22
	v_fma_f32 v26, v21, s2, -v23
	v_rndne_f32_e32 v27, v23
	v_fmac_f32_e32 v24, 0x32a5705f, v17
	v_sub_f32_e32 v22, v22, v25
	v_fmac_f32_e32 v26, 0x32a5705f, v21
	v_sub_f32_e32 v23, v23, v27
	v_add_f32_e32 v22, v22, v24
	v_cvt_i32_f32_e32 v25, v25
	v_add_f32_e32 v23, v23, v26
	v_exp_f32_e32 v22, v22
	v_cvt_i32_f32_e32 v27, v27
	v_exp_f32_e32 v23, v23
	v_cmp_eq_u32_e64 s[4:5], 0, v145
	v_cndmask_b32_e32 v139, v139, v19, vcc
	v_cmp_ngt_f32_e64 s[6:7], s10, v17
	v_cndmask_b32_e64 v138, v138, v19, s[4:5]
	v_ldexp_f32 v19, v22, v25
	s_mov_b32 s11, 0x42b17218
	v_ldexp_f32 v22, v23, v27
	v_cndmask_b32_e64 v19, 0, v19, s[6:7]
	v_cmp_ngt_f32_e64 s[6:7], s10, v21
	v_mov_b32_e32 v18, 0x7f800000
	v_cndmask_b32_e32 v20, v68, v69, vcc
	v_cndmask_b32_e64 v22, 0, v22, s[6:7]
	v_cmp_nlt_f32_e64 s[6:7], s11, v17
	s_nop 1
	v_cndmask_b32_e64 v17, v18, v19, s[6:7]
	v_cmp_nlt_f32_e64 s[6:7], s11, v21
	v_cvt_f16_f32_e32 v19, v17
	s_waitcnt vmcnt(3)
	v_pk_mul_f16 v0, v19, v0 op_sel_hi:[0,1]
	v_cndmask_b32_e64 v18, v18, v22, s[6:7]
	v_cmp_eq_u32_e64 s[6:7], 0, v144
	v_pk_mul_f16 v1, v19, v1 op_sel_hi:[0,1]
	v_pk_mul_f16 v2, v19, v2 op_sel_hi:[0,1]
	v_cndmask_b32_e64 v18, 0, v18, s[6:7]
	v_fmac_f32_e32 v18, v20, v17
	v_cndmask_b32_e32 v69, v69, v18, vcc
	v_pk_mul_f16 v3, v19, v3 op_sel_hi:[0,1]
	v_cndmask_b32_e64 v68, v68, v18, s[4:5]
	s_waitcnt vmcnt(2)
	v_pk_mul_f16 v4, v19, v4 op_sel_hi:[0,1]
	v_pk_mul_f16 v5, v19, v5 op_sel_hi:[0,1]
	v_pk_mul_f16 v6, v19, v6 op_sel_hi:[0,1]
	v_pk_mul_f16 v7, v19, v7 op_sel_hi:[0,1]
	s_waitcnt vmcnt(1)
	v_pk_mul_f16 v8, v19, v8 op_sel_hi:[0,1]
	v_pk_mul_f16 v9, v19, v9 op_sel_hi:[0,1]
	v_pk_mul_f16 v10, v19, v10 op_sel_hi:[0,1]
	v_pk_mul_f16 v11, v19, v11 op_sel_hi:[0,1]
	;; [unrolled: 5-line block ×3, first 2 shown]
	scratch_store_dwordx4 v16, v[0:3], off
	scratch_store_dwordx4 v16, v[4:7], off offset:16
	scratch_store_dwordx4 v16, v[8:11], off offset:32
	;; [unrolled: 1-line block ×3, first 2 shown]
.LBB31_72:
	s_or_b64 exec, exec, s[8:9]
	v_cmp_eq_u32_e32 vcc, 0, v145
	s_and_saveexec_b64 s[4:5], vcc
	s_cbranch_execz .LBB31_74
; %bb.73:
	v_mov_b32_e32 v0, 0xfeffffff
	v_add_u32_e32 v2, 0x2000, v148
	v_mov_b32_e32 v1, 0
	ds_write2_b32 v2, v0, v0 offset1:32
	ds_write2_b32 v2, v1, v1 offset0:64 offset1:96
.LBB31_74:
	s_or_b64 exec, exec, s[4:5]
	v_cmp_eq_u32_e64 s[4:5], 0, v144
	s_waitcnt lgkmcnt(0)
	s_barrier
	s_and_saveexec_b64 s[6:7], s[4:5]
	s_cbranch_execz .LBB31_76
; %bb.75:
	v_lshlrev_b32_e32 v0, 2, v145
	v_add_u32_e32 v0, 0x2000, v0
	ds_write2_b32 v0, v138, v139 offset1:32
.LBB31_76:
	s_or_b64 exec, exec, s[6:7]
	s_cmp_lt_i32 s22, s18
	s_waitcnt lgkmcnt(0)
	s_barrier
	s_cbranch_scc1 .LBB31_78
; %bb.77:
	s_add_u32 s6, s0, 0xd0
	s_addc_u32 s7, s1, 0
	s_mul_i32 s2, s33, s18
	s_cbranch_execz .LBB31_79
	s_branch .LBB31_86
.LBB31_78:
                                        ; implicit-def: $sgpr6_sgpr7
	s_mul_i32 s2, s33, s18
.LBB31_79:
	scratch_load_dwordx4 v[8:11], off, off
	scratch_load_dwordx4 v[12:15], off, off offset:16
	v_mbcnt_hi_u32_b32 v0, -1, v150
	ds_read_b32 v4, v148 offset:8192
	v_and_b32_e32 v2, 0x60, v0
	scratch_load_dwordx4 v[16:19], off, off offset:32
	scratch_load_dwordx4 v[20:23], off, off offset:48
	v_xor_b32_e32 v3, 16, v0
	v_add_u32_e32 v6, 32, v2
	v_cmp_lt_i32_e32 vcc, v3, v6
	v_xor_b32_e32 v5, 8, v0
	v_xor_b32_e32 v26, 1, v0
	v_cndmask_b32_e32 v2, v0, v3, vcc
	v_lshlrev_b32_e32 v2, 2, v2
	s_waitcnt lgkmcnt(0)
	ds_bpermute_b32 v24, v2, v4
	v_cmp_lt_i32_e32 vcc, v5, v6
	v_max_f32_e32 v4, v4, v4
	s_mov_b32 s7, 0x3fb8aa3b
	v_cndmask_b32_e32 v3, v0, v5, vcc
	s_waitcnt lgkmcnt(0)
	v_max_f32_e32 v5, v24, v24
	v_lshlrev_b32_e32 v3, 2, v3
	v_max_f32_e32 v5, v4, v5
	ds_bpermute_b32 v24, v3, v5
	v_xor_b32_e32 v4, 4, v0
	v_cmp_lt_i32_e32 vcc, v4, v6
	s_mov_b32 s8, 0xc2ce8ed0
	v_lshlrev_b32_e32 v7, 6, v144
	v_cndmask_b32_e32 v4, v0, v4, vcc
	s_waitcnt lgkmcnt(0)
	v_max_f32_e32 v24, v24, v24
	v_lshlrev_b32_e32 v4, 2, v4
	v_max_f32_e32 v24, v5, v24
	ds_bpermute_b32 v25, v4, v24
	v_xor_b32_e32 v5, 2, v0
	v_cmp_lt_i32_e32 vcc, v5, v6
	s_mov_b32 s9, 0x42b17218
	v_and_b32_e32 v7, 0x1e00, v7
	v_cndmask_b32_e32 v5, v0, v5, vcc
	s_waitcnt lgkmcnt(0)
	v_max_f32_e32 v25, v25, v25
	v_lshlrev_b32_e32 v5, 2, v5
	v_max_f32_e32 v24, v24, v25
	ds_bpermute_b32 v25, v5, v24
	v_cmp_lt_i32_e32 vcc, v26, v6
	v_lshlrev_b32_e32 v1, 4, v144
	s_add_u32 s6, s0, 0xd0
	v_cndmask_b32_e32 v0, v0, v26, vcc
	v_lshlrev_b32_e32 v6, 2, v0
	s_waitcnt lgkmcnt(0)
	v_max_f32_e32 v0, v25, v25
	v_max_f32_e32 v0, v24, v0
	ds_bpermute_b32 v24, v6, v0
	v_mov_b32_e32 v25, 0x7f800000
	s_load_dword s10, s[0:1], 0xd4
	s_movk_i32 s0, 0x70
	v_lshl_add_u32 v7, v145, 11, v7
	s_waitcnt lgkmcnt(0)
	v_max_f32_e32 v24, v24, v24
	v_max_f32_e32 v0, v0, v24
	v_sub_f32_e32 v24, v138, v0
	v_mul_f32_e32 v26, 0x3fb8aa3b, v24
	v_fma_f32 v27, v24, s7, -v26
	v_rndne_f32_e32 v28, v26
	v_fmamk_f32 v27, v24, 0x32a5705f, v27
	v_sub_f32_e32 v26, v26, v28
	v_add_f32_e32 v26, v26, v27
	v_cvt_i32_f32_e32 v28, v28
	v_exp_f32_e32 v26, v26
	v_cmp_ngt_f32_e32 vcc, s8, v24
	v_and_or_b32 v7, v1, s0, v7
	s_addc_u32 s7, s1, 0
	v_ldexp_f32 v26, v26, v28
	v_cndmask_b32_e32 v26, 0, v26, vcc
	v_cmp_nlt_f32_e32 vcc, s9, v24
	s_nop 1
	v_cndmask_b32_e32 v28, v25, v26, vcc
	v_mul_f32_e32 v1, v68, v28
	ds_bpermute_b32 v1, v2, v1
	v_cvt_f16_f32_e32 v29, v28
	s_waitcnt lgkmcnt(0)
	v_fmac_f32_e32 v1, v68, v28
	s_waitcnt vmcnt(3)
	v_pk_mul_f16 v24, v29, v8 op_sel_hi:[0,1]
	ds_bpermute_b32 v8, v3, v1
	v_pk_mul_f16 v25, v29, v9 op_sel_hi:[0,1]
	v_pk_mul_f16 v26, v29, v10 op_sel_hi:[0,1]
	v_pk_mul_f16 v27, v29, v11 op_sel_hi:[0,1]
	s_waitcnt vmcnt(2)
	v_pk_mul_f16 v10, v29, v12 op_sel_hi:[0,1]
	s_waitcnt lgkmcnt(0)
	v_add_f32_e32 v1, v1, v8
	ds_bpermute_b32 v8, v4, v1
	v_pk_mul_f16 v11, v29, v13 op_sel_hi:[0,1]
	v_pk_mul_f16 v12, v29, v14 op_sel_hi:[0,1]
	v_pk_mul_f16 v13, v29, v15 op_sel_hi:[0,1]
	s_waitcnt vmcnt(1)
	v_pk_mul_f16 v14, v29, v16 op_sel_hi:[0,1]
	s_waitcnt lgkmcnt(0)
	v_add_f32_e32 v1, v1, v8
	;; [unrolled: 8-line block ×3, first 2 shown]
	ds_bpermute_b32 v8, v6, v1
	v_pk_mul_f16 v19, v29, v21 op_sel_hi:[0,1]
	v_pk_mul_f16 v20, v29, v22 op_sel_hi:[0,1]
	;; [unrolled: 1-line block ×3, first 2 shown]
	scratch_store_dwordx4 off, v[24:27], off
	scratch_store_dwordx4 off, v[10:13], off offset:16
	scratch_store_dwordx4 off, v[14:17], off offset:32
	;; [unrolled: 1-line block ×3, first 2 shown]
	ds_write_b128 v7, v[24:27]
	ds_write_b128 v7, v[10:13] offset:128
	ds_write_b128 v7, v[14:17] offset:256
	;; [unrolled: 1-line block ×3, first 2 shown]
	s_and_saveexec_b64 s[0:1], s[4:5]
	s_cbranch_execz .LBB31_81
; %bb.80:
	s_waitcnt lgkmcnt(4)
	v_add_f32_e32 v1, v1, v8
	v_lshlrev_b32_e32 v8, 2, v145
	ds_write_b32 v8, v1 offset:8448
.LBB31_81:
	s_or_b64 exec, exec, s[0:1]
	s_waitcnt lgkmcnt(0)
	s_barrier
	ds_read_b32 v1, v148 offset:8448
	ds_read_u16 v8, v147
	ds_read_u16 v9, v147 offset:1280
	ds_read_u16 v10, v147 offset:768
	;; [unrolled: 1-line block ×3, first 2 shown]
	s_waitcnt lgkmcnt(4)
	ds_bpermute_b32 v12, v2, v1
	ds_read_u16 v13, v147 offset:512
	ds_read_u16 v14, v147 offset:1024
	;; [unrolled: 1-line block ×4, first 2 shown]
	s_waitcnt lgkmcnt(8)
	v_cvt_f32_f16_e32 v8, v8
	s_waitcnt lgkmcnt(3)
	v_cvt_f32_f16_e32 v13, v13
	ds_read_u16 v17, v147 offset:3584
	ds_read_u16 v18, v147 offset:3328
	;; [unrolled: 1-line block ×4, first 2 shown]
	v_add_f32_e32 v1, v1, v12
	ds_bpermute_b32 v12, v3, v1
	v_add_f32_e32 v8, 0, v8
	v_add_f32_e32 v8, v8, v13
	ds_read_u16 v13, v147 offset:2560
	s_waitcnt lgkmcnt(8)
	v_cvt_f32_f16_e32 v14, v14
	s_waitcnt lgkmcnt(1)
	v_add_f32_e32 v1, v1, v12
	ds_bpermute_b32 v12, v4, v1
	v_cvt_f32_f16_e32 v15, v15
	v_add_f32_e32 v8, v8, v14
	s_waitcnt lgkmcnt(1)
	v_cvt_f32_f16_e32 v13, v13
	v_cvt_f32_f16_e32 v11, v11
	s_waitcnt lgkmcnt(0)
	v_add_f32_e32 v1, v1, v12
	ds_bpermute_b32 v12, v5, v1
	v_add_f32_e32 v8, v8, v15
	v_cvt_f32_f16_e32 v15, v19
	v_cvt_f32_f16_e32 v10, v10
	;; [unrolled: 1-line block ×3, first 2 shown]
	s_waitcnt lgkmcnt(0)
	v_add_f32_e32 v1, v1, v12
	ds_bpermute_b32 v12, v6, v1
	v_add_f32_e32 v11, 0, v11
	v_add_f32_e32 v10, v11, v10
	;; [unrolled: 1-line block ×3, first 2 shown]
	v_cvt_f32_f16_e32 v11, v20
	s_waitcnt lgkmcnt(0)
	v_add_f32_e32 v68, v1, v12
	v_cvt_f32_f16_e32 v1, v16
	v_cvt_f32_f16_e32 v16, v17
	ds_read_u16 v12, v147 offset:2304
	ds_read_u16 v14, v147 offset:1792
	s_cmp_eq_u32 s10, 1
	v_add_f32_e32 v1, v8, v1
	v_add_f32_e32 v1, v1, v13
	;; [unrolled: 1-line block ×4, first 2 shown]
	ds_read_u16 v8, v147 offset:4096
	ds_read_u16 v13, v147 offset:4608
	;; [unrolled: 1-line block ×8, first 2 shown]
	s_waitcnt lgkmcnt(7)
	v_cvt_f32_f16_e32 v8, v8
	s_waitcnt lgkmcnt(6)
	v_cvt_f32_f16_e32 v13, v13
	;; [unrolled: 2-line block ×3, first 2 shown]
	v_cvt_f32_f16_e32 v15, v15
	v_add_f32_e32 v1, v1, v8
	v_add_f32_e32 v1, v1, v13
	;; [unrolled: 1-line block ×3, first 2 shown]
	v_cvt_f32_f16_e32 v14, v14
	v_add_f32_e32 v1, v1, v15
	ds_read_u16 v8, v147 offset:6144
	ds_read_u16 v13, v147 offset:6656
	;; [unrolled: 1-line block ×8, first 2 shown]
	v_cvt_f32_f16_e32 v10, v12
	s_waitcnt lgkmcnt(7)
	v_cvt_f32_f16_e32 v8, v8
	s_waitcnt lgkmcnt(6)
	;; [unrolled: 2-line block ×3, first 2 shown]
	v_cvt_f32_f16_e32 v23, v23
	v_add_f32_e32 v9, v9, v14
	v_cvt_f32_f16_e32 v12, v18
	v_cvt_f32_f16_e32 v15, v15
	v_add_f32_e32 v9, v9, v10
	v_cvt_f32_f16_e32 v10, v22
	v_add_f32_e32 v1, v1, v8
	v_add_f32_e32 v1, v1, v13
	;; [unrolled: 1-line block ×3, first 2 shown]
	v_cvt_f32_f16_e32 v11, v21
	v_add_f32_e32 v1, v1, v23
	v_add_f32_e32 v9, v9, v12
	;; [unrolled: 1-line block ×4, first 2 shown]
	v_cvt_f32_f16_e32 v10, v19
	v_div_scale_f32 v1, s[0:1], v68, v68, v8
	v_cvt_f32_f16_e32 v12, v16
	v_rcp_f32_e32 v13, v1
	v_add_f32_e32 v9, v9, v11
	s_waitcnt lgkmcnt(0)
	v_cvt_f32_f16_e32 v11, v26
	v_add_f32_e32 v9, v9, v10
	ds_read_u16 v10, v147 offset:7936
	v_add_f32_e32 v9, v9, v12
	v_fma_f32 v15, -v1, v13, 1.0
	v_add_f32_e32 v9, v9, v11
	v_cvt_f32_f16_e32 v11, v25
	v_fmac_f32_e32 v13, v15, v13
	v_div_scale_f32 v15, vcc, v8, v68, v8
	v_cvt_f32_f16_e32 v12, v24
	v_mul_f32_e32 v23, v15, v13
	v_cvt_f32_f16_e32 v14, v17
	v_fma_f32 v27, -v1, v23, v15
	s_cselect_b64 s[0:1], -1, 0
	s_add_i32 s8, s2, s22
	s_waitcnt lgkmcnt(0)
	v_cvt_f32_f16_e32 v10, v10
	v_fmac_f32_e32 v23, v27, v13
	s_mul_i32 s11, s8, s19
	v_add_f32_e32 v9, v9, v11
	v_fma_f32 v1, -v1, v23, v15
	s_add_i32 s11, s11, s20
	v_add_f32_e32 v9, v9, v12
	v_div_fmas_f32 v1, v1, v13, v23
	s_mul_i32 s8, s10, s11
	v_add_f32_e32 v9, v9, v14
	v_div_fixup_f32 v13, v1, v68, v8
	s_add_i32 s8, s8, s3
	v_add_f32_e32 v10, v9, v10
	v_cndmask_b32_e64 v13, v8, v13, s[0:1]
	v_lshl_or_b32 v8, s8, 8, v146
	v_div_scale_f32 v11, s[8:9], v68, v68, v10
	v_rcp_f32_e32 v12, v11
	v_mov_b32_e32 v9, 0
	v_lshl_add_u64 v[8:9], v[8:9], 2, s[48:49]
	global_store_dword v[8:9], v13, off
	v_fma_f32 v13, -v11, v12, 1.0
	v_fmac_f32_e32 v12, v13, v12
	v_div_scale_f32 v13, vcc, v10, v68, v10
	v_mul_f32_e32 v14, v13, v12
	v_fma_f32 v15, -v11, v14, v13
	v_fmac_f32_e32 v14, v15, v12
	v_fma_f32 v11, -v11, v14, v13
	v_div_fmas_f32 v11, v11, v12, v14
	v_div_fixup_f32 v11, v11, v68, v10
	s_or_b32 s8, s22, 1
	v_mov_b32_e32 v1, v139
	v_cndmask_b32_e64 v10, v10, v11, s[0:1]
	s_cmp_ge_i32 s8, s18
	global_store_dword v[8:9], v10, off offset:512
	s_barrier
	s_cbranch_scc1 .LBB31_85
; %bb.82:
	v_or_b32_e32 v1, 0x2000, v148
	ds_read_b32 v1, v1 offset:128
	scratch_load_dwordx4 v[12:15], off, off offset:64
	scratch_load_dwordx4 v[16:19], off, off offset:80
	;; [unrolled: 1-line block ×4, first 2 shown]
	s_waitcnt lgkmcnt(0)
	ds_bpermute_b32 v8, v2, v1
	v_max_f32_e32 v1, v1, v1
	s_mov_b32 s8, 0x3fb8aa3b
	s_mov_b32 s9, 0x42b17218
	v_or_b32_e32 v28, 0x100, v7
	s_waitcnt lgkmcnt(0)
	v_max_f32_e32 v8, v8, v8
	v_max_f32_e32 v1, v1, v8
	ds_bpermute_b32 v8, v3, v1
	v_or_b32_e32 v29, 0x180, v7
	s_waitcnt lgkmcnt(0)
	v_max_f32_e32 v8, v8, v8
	v_max_f32_e32 v1, v1, v8
	ds_bpermute_b32 v8, v4, v1
	s_waitcnt lgkmcnt(0)
	v_max_f32_e32 v8, v8, v8
	v_max_f32_e32 v1, v1, v8
	ds_bpermute_b32 v8, v5, v1
	s_waitcnt lgkmcnt(0)
	v_max_f32_e32 v8, v8, v8
	v_max_f32_e32 v1, v1, v8
	ds_bpermute_b32 v8, v6, v1
	s_waitcnt lgkmcnt(0)
	v_max_f32_e32 v8, v8, v8
	v_max_f32_e32 v1, v1, v8
	v_sub_f32_e32 v8, v139, v1
	v_mul_f32_e32 v9, 0x3fb8aa3b, v8
	v_fma_f32 v10, v8, s8, -v9
	v_rndne_f32_e32 v11, v9
	v_fmamk_f32 v10, v8, 0x32a5705f, v10
	v_sub_f32_e32 v9, v9, v11
	v_add_f32_e32 v9, v9, v10
	v_cvt_i32_f32_e32 v11, v11
	v_exp_f32_e32 v9, v9
	s_mov_b32 s8, 0xc2ce8ed0
	v_cmp_ngt_f32_e32 vcc, s8, v8
	v_mov_b32_e32 v10, 0x7f800000
	v_ldexp_f32 v9, v9, v11
	v_cndmask_b32_e32 v9, 0, v9, vcc
	v_cmp_nlt_f32_e32 vcc, s9, v8
	v_or_b32_e32 v11, 0x80, v7
	s_nop 0
	v_cndmask_b32_e32 v8, v10, v9, vcc
	v_mul_f32_e32 v9, v69, v8
	ds_bpermute_b32 v9, v2, v9
	v_cvt_f16_f32_e32 v30, v8
	s_waitcnt lgkmcnt(0)
	v_fmac_f32_e32 v9, v69, v8
	ds_bpermute_b32 v10, v3, v9
	v_add_u32_e32 v8, 0x2100, v148
	s_waitcnt lgkmcnt(0)
	v_add_f32_e32 v9, v9, v10
	ds_bpermute_b32 v10, v4, v9
	s_waitcnt lgkmcnt(0)
	v_add_f32_e32 v9, v9, v10
	ds_bpermute_b32 v10, v5, v9
	s_waitcnt vmcnt(3)
	v_pk_mul_f16 v12, v30, v12 op_sel_hi:[0,1]
	s_waitcnt lgkmcnt(0)
	v_add_f32_e32 v9, v9, v10
	ds_bpermute_b32 v10, v6, v9
	v_pk_mul_f16 v13, v30, v13 op_sel_hi:[0,1]
	v_pk_mul_f16 v14, v30, v14 op_sel_hi:[0,1]
	v_pk_mul_f16 v15, v30, v15 op_sel_hi:[0,1]
	s_waitcnt vmcnt(2)
	v_pk_mul_f16 v16, v30, v16 op_sel_hi:[0,1]
	v_pk_mul_f16 v17, v30, v17 op_sel_hi:[0,1]
	v_pk_mul_f16 v18, v30, v18 op_sel_hi:[0,1]
	v_pk_mul_f16 v19, v30, v19 op_sel_hi:[0,1]
	s_waitcnt vmcnt(1)
	v_pk_mul_f16 v20, v30, v20 op_sel_hi:[0,1]
	;; [unrolled: 5-line block ×3, first 2 shown]
	v_pk_mul_f16 v25, v30, v25 op_sel_hi:[0,1]
	v_pk_mul_f16 v26, v30, v26 op_sel_hi:[0,1]
	;; [unrolled: 1-line block ×3, first 2 shown]
	scratch_store_dwordx4 off, v[12:15], off offset:64
	scratch_store_dwordx4 off, v[16:19], off offset:80
	;; [unrolled: 1-line block ×4, first 2 shown]
	ds_write_b128 v7, v[12:15]
	ds_write_b128 v11, v[16:19]
	;; [unrolled: 1-line block ×4, first 2 shown]
	s_and_saveexec_b64 s[8:9], s[4:5]
	s_cbranch_execz .LBB31_84
; %bb.83:
	v_lshlrev_b32_e32 v7, 2, v145
	s_waitcnt lgkmcnt(4)
	v_add_f32_e32 v9, v9, v10
	ds_write_b32 v7, v9 offset:8576
.LBB31_84:
	s_or_b64 exec, exec, s[8:9]
	s_waitcnt lgkmcnt(0)
	s_barrier
	ds_read_b32 v7, v8 offset:128
	ds_read_u16 v8, v147
	ds_read_u16 v9, v147 offset:1280
	ds_read_u16 v10, v147 offset:768
	;; [unrolled: 1-line block ×3, first 2 shown]
	s_waitcnt lgkmcnt(4)
	ds_bpermute_b32 v2, v2, v7
	s_add_i32 s11, s11, s19
	s_waitcnt lgkmcnt(3)
	v_cvt_f32_f16_e32 v9, v9
	s_waitcnt lgkmcnt(2)
	v_cvt_f32_f16_e32 v10, v10
	s_waitcnt lgkmcnt(1)
	v_cvt_f32_f16_e32 v11, v11
	s_waitcnt lgkmcnt(0)
	v_add_f32_e32 v2, v7, v2
	ds_bpermute_b32 v3, v3, v2
	ds_read_u16 v7, v147 offset:512
	ds_read_u16 v12, v147 offset:1024
	;; [unrolled: 1-line block ×3, first 2 shown]
	v_add_f32_e32 v11, 0, v11
	v_add_f32_e32 v10, v11, v10
	s_waitcnt lgkmcnt(2)
	v_cvt_f32_f16_e32 v7, v7
	v_add_f32_e32 v2, v2, v3
	ds_bpermute_b32 v3, v4, v2
	ds_read_u16 v4, v147 offset:2048
	ds_read_u16 v14, v147 offset:2560
	v_add_f32_e32 v9, v10, v9
	s_mul_i32 s4, s10, s11
	s_add_i32 s8, s4, s3
	s_waitcnt lgkmcnt(2)
	v_add_f32_e32 v2, v2, v3
	ds_bpermute_b32 v3, v5, v2
	v_cvt_f32_f16_e32 v5, v8
	v_cvt_f32_f16_e32 v8, v12
	;; [unrolled: 1-line block ×3, first 2 shown]
	s_waitcnt lgkmcnt(2)
	v_cvt_f32_f16_e32 v4, v4
	s_waitcnt lgkmcnt(0)
	v_add_f32_e32 v2, v2, v3
	ds_bpermute_b32 v3, v6, v2
	v_add_f32_e32 v5, 0, v5
	v_add_f32_e32 v5, v5, v7
	;; [unrolled: 1-line block ×4, first 2 shown]
	s_waitcnt lgkmcnt(0)
	v_add_f32_e32 v69, v2, v3
	ds_read_u16 v2, v147 offset:3584
	ds_read_u16 v6, v147 offset:3328
	;; [unrolled: 1-line block ×6, first 2 shown]
	v_cvt_f32_f16_e32 v13, v14
	s_waitcnt lgkmcnt(3)
	v_cvt_f32_f16_e32 v3, v3
	v_cvt_f32_f16_e32 v2, v2
	v_add_f32_e32 v4, v5, v4
	v_add_f32_e32 v4, v4, v13
	;; [unrolled: 1-line block ×4, first 2 shown]
	ds_read_u16 v3, v147 offset:4096
	ds_read_u16 v4, v147 offset:4608
	;; [unrolled: 1-line block ×8, first 2 shown]
	s_waitcnt lgkmcnt(7)
	v_cvt_f32_f16_e32 v3, v3
	s_waitcnt lgkmcnt(6)
	v_cvt_f32_f16_e32 v4, v4
	;; [unrolled: 2-line block ×3, first 2 shown]
	v_cvt_f32_f16_e32 v12, v12
	v_cvt_f32_f16_e32 v5, v5
	;; [unrolled: 1-line block ×3, first 2 shown]
	v_add_f32_e32 v2, v2, v3
	v_cvt_f32_f16_e32 v7, v7
	v_add_f32_e32 v2, v2, v4
	v_cvt_f32_f16_e32 v6, v6
	v_add_f32_e32 v2, v2, v14
	v_add_f32_e32 v9, v9, v12
	;; [unrolled: 1-line block ×3, first 2 shown]
	ds_read_u16 v3, v147 offset:6144
	ds_read_u16 v4, v147 offset:6656
	;; [unrolled: 1-line block ×8, first 2 shown]
	v_add_f32_e32 v8, v9, v8
	s_waitcnt lgkmcnt(7)
	v_cvt_f32_f16_e32 v3, v3
	v_cvt_f32_f16_e32 v9, v17
	v_add_f32_e32 v7, v8, v7
	s_waitcnt lgkmcnt(6)
	v_cvt_f32_f16_e32 v4, v4
	v_add_f32_e32 v6, v7, v6
	v_cvt_f32_f16_e32 v7, v16
	s_waitcnt lgkmcnt(3)
	v_cvt_f32_f16_e32 v18, v18
	v_cvt_f32_f16_e32 v5, v5
	;; [unrolled: 1-line block ×3, first 2 shown]
	v_add_f32_e32 v2, v2, v3
	v_add_f32_e32 v6, v6, v9
	v_cvt_f32_f16_e32 v9, v13
	v_add_f32_e32 v2, v2, v4
	v_add_f32_e32 v6, v6, v7
	s_waitcnt lgkmcnt(0)
	v_cvt_f32_f16_e32 v7, v21
	v_add_f32_e32 v2, v2, v18
	v_add_f32_e32 v4, v2, v5
	;; [unrolled: 1-line block ×3, first 2 shown]
	ds_read_u16 v8, v147 offset:7936
	v_div_scale_f32 v5, s[4:5], v69, v69, v4
	v_add_f32_e32 v6, v6, v9
	v_rcp_f32_e32 v18, v5
	v_add_f32_e32 v6, v6, v7
	v_cvt_f32_f16_e32 v7, v20
	v_cvt_f32_f16_e32 v9, v19
	;; [unrolled: 1-line block ×3, first 2 shown]
	s_waitcnt lgkmcnt(0)
	v_cvt_f32_f16_e32 v8, v8
	v_fma_f32 v22, -v5, v18, 1.0
	v_add_f32_e32 v6, v6, v7
	v_fmac_f32_e32 v18, v22, v18
	v_div_scale_f32 v22, vcc, v4, v69, v4
	v_add_f32_e32 v6, v6, v9
	v_mul_f32_e32 v23, v22, v18
	v_add_f32_e32 v6, v6, v10
	v_fma_f32 v24, -v5, v23, v22
	v_add_f32_e32 v6, v6, v8
	v_fmac_f32_e32 v23, v24, v18
	v_div_scale_f32 v7, s[4:5], v69, v69, v6
	v_fma_f32 v5, -v5, v23, v22
	v_rcp_f32_e32 v8, v7
	v_div_fmas_f32 v5, v5, v18, v23
	v_lshl_or_b32 v2, s8, 8, v146
	v_mov_b32_e32 v3, 0
	v_div_fixup_f32 v5, v5, v69, v4
	v_lshl_add_u64 v[2:3], v[2:3], 2, s[48:49]
	v_cndmask_b32_e64 v4, v4, v5, s[0:1]
	global_store_dword v[2:3], v4, off
	v_fma_f32 v4, -v7, v8, 1.0
	v_fmac_f32_e32 v8, v4, v8
	v_div_scale_f32 v4, vcc, v6, v69, v6
	v_mul_f32_e32 v5, v4, v8
	v_fma_f32 v9, -v7, v5, v4
	v_fmac_f32_e32 v5, v9, v8
	v_fma_f32 v4, -v7, v5, v4
	v_div_fmas_f32 v4, v4, v8, v5
	v_div_fixup_f32 v4, v4, v69, v6
	v_cndmask_b32_e64 v4, v6, v4, s[0:1]
	global_store_dword v[2:3], v4, off offset:512
.LBB31_85:
	v_mov_b64_e32 v[138:139], v[0:1]
.LBB31_86:
	s_load_dword s0, s[6:7], 0x4
	v_cmp_gt_u32_e32 vcc, 2, v146
	v_or_b32_e32 v0, s22, v144
	s_waitcnt lgkmcnt(0)
	s_cmp_lg_u32 s0, 1
	s_cselect_b64 s[4:5], -1, 0
	s_and_b64 s[4:5], vcc, s[4:5]
	v_cmp_gt_i32_e32 vcc, s18, v0
	s_and_b64 s[4:5], s[4:5], vcc
	s_and_saveexec_b64 s[6:7], s[4:5]
	s_cbranch_execz .LBB31_88
; %bb.87:
	v_add_u32_e32 v0, s2, v0
	v_mul_lo_u32 v0, v0, s19
	v_add_u32_e32 v0, s20, v0
	v_mul_lo_u32 v0, s0, v0
	v_mov_b32_e32 v2, s50
	v_mov_b32_e32 v3, s51
	v_cmp_eq_u32_e32 vcc, 1, v146
	v_add_u32_e32 v0, s3, v0
	v_mov_b32_e32 v1, 0
	v_cndmask_b32_e32 v4, v138, v139, vcc
	v_cndmask_b32_e32 v5, v68, v69, vcc
	v_lshl_add_u64 v[0:1], v[0:1], 3, v[2:3]
	global_store_dwordx2 v[0:1], v[4:5], off
.LBB31_88:
	s_endpgm
	.section	.rodata,"a",@progbits
	.p2align	6, 0x0
	.amdhsa_kernel _ZL18flash_attn_ext_vecILi256ELi2EL9ggml_type2ELS0_30ELb1EEvPKcS2_S2_S2_S2_PKiPfP15HIP_vector_typeIfLj2EEffffjfiS6_IjLj3EEiiiiiiiiiiiliiliiiiil
		.amdhsa_group_segment_fixed_size 8704
		.amdhsa_private_segment_fixed_size 144
		.amdhsa_kernarg_size 464
		.amdhsa_user_sgpr_count 2
		.amdhsa_user_sgpr_dispatch_ptr 0
		.amdhsa_user_sgpr_queue_ptr 0
		.amdhsa_user_sgpr_kernarg_segment_ptr 1
		.amdhsa_user_sgpr_dispatch_id 0
		.amdhsa_user_sgpr_kernarg_preload_length 0
		.amdhsa_user_sgpr_kernarg_preload_offset 0
		.amdhsa_user_sgpr_private_segment_size 0
		.amdhsa_uses_dynamic_stack 0
		.amdhsa_enable_private_segment 1
		.amdhsa_system_sgpr_workgroup_id_x 1
		.amdhsa_system_sgpr_workgroup_id_y 1
		.amdhsa_system_sgpr_workgroup_id_z 1
		.amdhsa_system_sgpr_workgroup_info 0
		.amdhsa_system_vgpr_workitem_id 1
		.amdhsa_next_free_vgpr 173
		.amdhsa_next_free_sgpr 60
		.amdhsa_accum_offset 176
		.amdhsa_reserve_vcc 1
		.amdhsa_float_round_mode_32 0
		.amdhsa_float_round_mode_16_64 0
		.amdhsa_float_denorm_mode_32 3
		.amdhsa_float_denorm_mode_16_64 3
		.amdhsa_dx10_clamp 1
		.amdhsa_ieee_mode 1
		.amdhsa_fp16_overflow 0
		.amdhsa_tg_split 0
		.amdhsa_exception_fp_ieee_invalid_op 0
		.amdhsa_exception_fp_denorm_src 0
		.amdhsa_exception_fp_ieee_div_zero 0
		.amdhsa_exception_fp_ieee_overflow 0
		.amdhsa_exception_fp_ieee_underflow 0
		.amdhsa_exception_fp_ieee_inexact 0
		.amdhsa_exception_int_div_zero 0
	.end_amdhsa_kernel
	.section	.text._ZL18flash_attn_ext_vecILi256ELi2EL9ggml_type2ELS0_30ELb1EEvPKcS2_S2_S2_S2_PKiPfP15HIP_vector_typeIfLj2EEffffjfiS6_IjLj3EEiiiiiiiiiiiliiliiiiil,"axG",@progbits,_ZL18flash_attn_ext_vecILi256ELi2EL9ggml_type2ELS0_30ELb1EEvPKcS2_S2_S2_S2_PKiPfP15HIP_vector_typeIfLj2EEffffjfiS6_IjLj3EEiiiiiiiiiiiliiliiiiil,comdat
.Lfunc_end31:
	.size	_ZL18flash_attn_ext_vecILi256ELi2EL9ggml_type2ELS0_30ELb1EEvPKcS2_S2_S2_S2_PKiPfP15HIP_vector_typeIfLj2EEffffjfiS6_IjLj3EEiiiiiiiiiiiliiliiiiil, .Lfunc_end31-_ZL18flash_attn_ext_vecILi256ELi2EL9ggml_type2ELS0_30ELb1EEvPKcS2_S2_S2_S2_PKiPfP15HIP_vector_typeIfLj2EEffffjfiS6_IjLj3EEiiiiiiiiiiiliiliiiiil
                                        ; -- End function
	.section	.AMDGPU.csdata,"",@progbits
; Kernel info:
; codeLenInByte = 24388
; NumSgprs: 66
; NumVgprs: 173
; NumAgprs: 0
; TotalNumVgprs: 173
; ScratchSize: 144
; MemoryBound: 0
; FloatMode: 240
; IeeeMode: 1
; LDSByteSize: 8704 bytes/workgroup (compile time only)
; SGPRBlocks: 8
; VGPRBlocks: 21
; NumSGPRsForWavesPerEU: 66
; NumVGPRsForWavesPerEU: 173
; AccumOffset: 176
; Occupancy: 2
; WaveLimiterHint : 0
; COMPUTE_PGM_RSRC2:SCRATCH_EN: 1
; COMPUTE_PGM_RSRC2:USER_SGPR: 2
; COMPUTE_PGM_RSRC2:TRAP_HANDLER: 0
; COMPUTE_PGM_RSRC2:TGID_X_EN: 1
; COMPUTE_PGM_RSRC2:TGID_Y_EN: 1
; COMPUTE_PGM_RSRC2:TGID_Z_EN: 1
; COMPUTE_PGM_RSRC2:TIDIG_COMP_CNT: 1
; COMPUTE_PGM_RSRC3_GFX90A:ACCUM_OFFSET: 43
; COMPUTE_PGM_RSRC3_GFX90A:TG_SPLIT: 0
	.text
	.p2alignl 6, 3212836864
	.fill 256, 4, 3212836864
	.type	.str.1,@object                  ; @.str.1
	.section	.rodata.str1.1,"aMS",@progbits,1
.str.1:
	.asciz	"/root/src/amdgpu-assembly/repos/ggml-org__llama.cpp/ggml/src/ggml-cuda/template-instances/../fattn-vec.cuh"
	.size	.str.1, 107

	.type	__FUNCTION__._ZL18flash_attn_ext_vecILi64ELi1EL9ggml_type2ELS0_30ELb1EEvPKcS2_S2_S2_S2_PKiPfP15HIP_vector_typeIfLj2EEffffjfiS6_IjLj3EEiiiiiiiiiiiliiliiiiil,@object ; @__FUNCTION__._ZL18flash_attn_ext_vecILi64ELi1EL9ggml_type2ELS0_30ELb1EEvPKcS2_S2_S2_S2_PKiPfP15HIP_vector_typeIfLj2EEffffjfiS6_IjLj3EEiiiiiiiiiiiliiliiiiil
__FUNCTION__._ZL18flash_attn_ext_vecILi64ELi1EL9ggml_type2ELS0_30ELb1EEvPKcS2_S2_S2_S2_PKiPfP15HIP_vector_typeIfLj2EEffffjfiS6_IjLj3EEiiiiiiiiiiiliiliiiiil:
	.asciz	"flash_attn_ext_vec"
	.size	__FUNCTION__._ZL18flash_attn_ext_vecILi64ELi1EL9ggml_type2ELS0_30ELb1EEvPKcS2_S2_S2_S2_PKiPfP15HIP_vector_typeIfLj2EEffffjfiS6_IjLj3EEiiiiiiiiiiiliiliiiiil, 19

	.type	.str.3,@object                  ; @.str.3
.str.3:
	.asciz	"%s:%d: ERROR: HIP kernel %s has no device code compatible with HIP arch %d.\n"
	.size	.str.3, 77

	.type	__hip_cuid_35e6b0dbe8a3c5b6,@object ; @__hip_cuid_35e6b0dbe8a3c5b6
	.section	.bss,"aw",@nobits
	.globl	__hip_cuid_35e6b0dbe8a3c5b6
__hip_cuid_35e6b0dbe8a3c5b6:
	.byte	0                               ; 0x0
	.size	__hip_cuid_35e6b0dbe8a3c5b6, 1

	.ident	"AMD clang version 19.0.0git (https://github.com/RadeonOpenCompute/llvm-project roc-6.4.0 25133 c7fe45cf4b819c5991fe208aaa96edf142730f1d)"
	.section	".note.GNU-stack","",@progbits
	.addrsig
	.addrsig_sym __hip_cuid_35e6b0dbe8a3c5b6
	.amdgpu_metadata
---
amdhsa.kernels:
  - .agpr_count:     0
    .args:
      - .address_space:  global
        .offset:         0
        .size:           8
        .value_kind:     global_buffer
      - .address_space:  global
        .offset:         8
        .size:           8
        .value_kind:     global_buffer
      - .address_space:  global
        .offset:         16
        .size:           8
        .value_kind:     global_buffer
      - .address_space:  global
        .offset:         24
        .size:           8
        .value_kind:     global_buffer
      - .address_space:  global
        .offset:         32
        .size:           8
        .value_kind:     global_buffer
      - .address_space:  global
        .offset:         40
        .size:           8
        .value_kind:     global_buffer
      - .address_space:  global
        .offset:         48
        .size:           8
        .value_kind:     global_buffer
      - .address_space:  global
        .offset:         56
        .size:           8
        .value_kind:     global_buffer
      - .offset:         64
        .size:           4
        .value_kind:     by_value
      - .offset:         68
        .size:           4
        .value_kind:     by_value
      - .offset:         72
        .size:           4
        .value_kind:     by_value
      - .offset:         76
        .size:           4
        .value_kind:     by_value
      - .offset:         80
        .size:           4
        .value_kind:     by_value
      - .offset:         84
        .size:           4
        .value_kind:     by_value
      - .offset:         88
        .size:           4
        .value_kind:     by_value
      - .offset:         92
        .size:           12
        .value_kind:     by_value
      - .offset:         104
        .size:           4
        .value_kind:     by_value
      - .offset:         108
        .size:           4
        .value_kind:     by_value
      - .offset:         112
        .size:           4
        .value_kind:     by_value
      - .offset:         116
        .size:           4
        .value_kind:     by_value
      - .offset:         120
        .size:           4
        .value_kind:     by_value
      - .offset:         124
        .size:           4
        .value_kind:     by_value
      - .offset:         128
        .size:           4
        .value_kind:     by_value
      - .offset:         132
        .size:           4
        .value_kind:     by_value
      - .offset:         136
        .size:           4
        .value_kind:     by_value
      - .offset:         140
        .size:           4
        .value_kind:     by_value
      - .offset:         144
        .size:           4
        .value_kind:     by_value
      - .offset:         152
        .size:           8
        .value_kind:     by_value
      - .offset:         160
        .size:           4
        .value_kind:     by_value
      - .offset:         164
        .size:           4
        .value_kind:     by_value
      - .offset:         168
        .size:           8
        .value_kind:     by_value
      - .offset:         176
        .size:           4
        .value_kind:     by_value
      - .offset:         180
        .size:           4
        .value_kind:     by_value
      - .offset:         184
        .size:           4
        .value_kind:     by_value
      - .offset:         188
        .size:           4
        .value_kind:     by_value
      - .offset:         192
        .size:           4
        .value_kind:     by_value
      - .offset:         200
        .size:           8
        .value_kind:     by_value
      - .offset:         208
        .size:           4
        .value_kind:     hidden_block_count_x
      - .offset:         212
        .size:           4
        .value_kind:     hidden_block_count_y
      - .offset:         216
        .size:           4
        .value_kind:     hidden_block_count_z
      - .offset:         220
        .size:           2
        .value_kind:     hidden_group_size_x
      - .offset:         222
        .size:           2
        .value_kind:     hidden_group_size_y
      - .offset:         224
        .size:           2
        .value_kind:     hidden_group_size_z
      - .offset:         226
        .size:           2
        .value_kind:     hidden_remainder_x
      - .offset:         228
        .size:           2
        .value_kind:     hidden_remainder_y
      - .offset:         230
        .size:           2
        .value_kind:     hidden_remainder_z
      - .offset:         248
        .size:           8
        .value_kind:     hidden_global_offset_x
      - .offset:         256
        .size:           8
        .value_kind:     hidden_global_offset_y
      - .offset:         264
        .size:           8
        .value_kind:     hidden_global_offset_z
      - .offset:         272
        .size:           2
        .value_kind:     hidden_grid_dims
    .group_segment_fixed_size: 2304
    .kernarg_segment_align: 8
    .kernarg_segment_size: 464
    .language:       OpenCL C
    .language_version:
      - 2
      - 0
    .max_flat_workgroup_size: 128
    .name:           _ZL18flash_attn_ext_vecILi64ELi1EL9ggml_type2ELS0_30ELb0EEvPKcS2_S2_S2_S2_PKiPfP15HIP_vector_typeIfLj2EEffffjfiS6_IjLj3EEiiiiiiiiiiiliiliiiiil
    .private_segment_fixed_size: 0
    .sgpr_count:     73
    .sgpr_spill_count: 0
    .symbol:         _ZL18flash_attn_ext_vecILi64ELi1EL9ggml_type2ELS0_30ELb0EEvPKcS2_S2_S2_S2_PKiPfP15HIP_vector_typeIfLj2EEffffjfiS6_IjLj3EEiiiiiiiiiiiliiliiiiil.kd
    .uniform_work_group_size: 1
    .uses_dynamic_stack: false
    .vgpr_count:     80
    .vgpr_spill_count: 0
    .wavefront_size: 64
  - .agpr_count:     0
    .args:
      - .actual_access:  read_only
        .address_space:  global
        .offset:         0
        .size:           8
        .value_kind:     global_buffer
      - .actual_access:  write_only
        .address_space:  global
        .offset:         8
        .size:           8
        .value_kind:     global_buffer
      - .offset:         16
        .size:           4
        .value_kind:     by_value
      - .offset:         20
        .size:           4
        .value_kind:     by_value
      - .offset:         24
        .size:           4
        .value_kind:     by_value
      - .offset:         32
        .size:           4
        .value_kind:     hidden_block_count_x
      - .offset:         36
        .size:           4
        .value_kind:     hidden_block_count_y
      - .offset:         40
        .size:           4
        .value_kind:     hidden_block_count_z
      - .offset:         44
        .size:           2
        .value_kind:     hidden_group_size_x
      - .offset:         46
        .size:           2
        .value_kind:     hidden_group_size_y
      - .offset:         48
        .size:           2
        .value_kind:     hidden_group_size_z
      - .offset:         50
        .size:           2
        .value_kind:     hidden_remainder_x
      - .offset:         52
        .size:           2
        .value_kind:     hidden_remainder_y
      - .offset:         54
        .size:           2
        .value_kind:     hidden_remainder_z
      - .offset:         72
        .size:           8
        .value_kind:     hidden_global_offset_x
      - .offset:         80
        .size:           8
        .value_kind:     hidden_global_offset_y
      - .offset:         88
        .size:           8
        .value_kind:     hidden_global_offset_z
      - .offset:         96
        .size:           2
        .value_kind:     hidden_grid_dims
    .group_segment_fixed_size: 128
    .kernarg_segment_align: 8
    .kernarg_segment_size: 288
    .language:       OpenCL C
    .language_version:
      - 2
      - 0
    .max_flat_workgroup_size: 128
    .name:           _ZL25flash_attn_mask_to_KV_maxILi1EEvPK7__half2Piiii
    .private_segment_fixed_size: 0
    .sgpr_count:     26
    .sgpr_spill_count: 0
    .symbol:         _ZL25flash_attn_mask_to_KV_maxILi1EEvPK7__half2Piiii.kd
    .uniform_work_group_size: 1
    .uses_dynamic_stack: false
    .vgpr_count:     18
    .vgpr_spill_count: 0
    .wavefront_size: 64
  - .agpr_count:     0
    .args:
      - .address_space:  global
        .offset:         0
        .size:           8
        .value_kind:     global_buffer
      - .address_space:  global
        .offset:         8
        .size:           8
        .value_kind:     global_buffer
      - .offset:         16
        .size:           4
        .value_kind:     by_value
      - .offset:         20
        .size:           4
        .value_kind:     by_value
      - .offset:         24
        .size:           4
        .value_kind:     by_value
      - .offset:         28
        .size:           4
        .value_kind:     by_value
      - .offset:         32
        .size:           4
        .value_kind:     by_value
      - .offset:         36
        .size:           4
        .value_kind:     by_value
      - .offset:         40
        .size:           12
        .value_kind:     by_value
      - .offset:         52
        .size:           12
        .value_kind:     by_value
      - .offset:         64
        .size:           12
        .value_kind:     by_value
    .group_segment_fixed_size: 0
    .kernarg_segment_align: 8
    .kernarg_segment_size: 76
    .language:       OpenCL C
    .language_version:
      - 2
      - 0
    .max_flat_workgroup_size: 64
    .name:           _ZL33flash_attn_stream_k_fixup_uniformILi64ELi1ELi1EEvPfPK15HIP_vector_typeIfLj2EEiiiiiiS1_IjLj3EES5_S5_
    .private_segment_fixed_size: 0
    .sgpr_count:     26
    .sgpr_spill_count: 0
    .symbol:         _ZL33flash_attn_stream_k_fixup_uniformILi64ELi1ELi1EEvPfPK15HIP_vector_typeIfLj2EEiiiiiiS1_IjLj3EES5_S5_.kd
    .uniform_work_group_size: 1
    .uses_dynamic_stack: false
    .vgpr_count:     16
    .vgpr_spill_count: 0
    .wavefront_size: 64
  - .agpr_count:     0
    .args:
      - .address_space:  global
        .offset:         0
        .size:           8
        .value_kind:     global_buffer
      - .address_space:  global
        .offset:         8
        .size:           8
        .value_kind:     global_buffer
      - .offset:         16
        .size:           4
        .value_kind:     by_value
      - .offset:         20
        .size:           4
        .value_kind:     by_value
      - .offset:         24
        .size:           4
        .value_kind:     by_value
      - .offset:         28
        .size:           4
        .value_kind:     by_value
      - .offset:         32
        .size:           12
        .value_kind:     by_value
      - .offset:         44
        .size:           12
        .value_kind:     by_value
      - .offset:         56
        .size:           12
        .value_kind:     by_value
      - .offset:         68
        .size:           12
        .value_kind:     by_value
      - .offset:         80
        .size:           4
        .value_kind:     hidden_block_count_x
      - .offset:         84
        .size:           4
        .value_kind:     hidden_block_count_y
      - .offset:         88
        .size:           4
        .value_kind:     hidden_block_count_z
      - .offset:         92
        .size:           2
        .value_kind:     hidden_group_size_x
      - .offset:         94
        .size:           2
        .value_kind:     hidden_group_size_y
      - .offset:         96
        .size:           2
        .value_kind:     hidden_group_size_z
      - .offset:         98
        .size:           2
        .value_kind:     hidden_remainder_x
      - .offset:         100
        .size:           2
        .value_kind:     hidden_remainder_y
      - .offset:         102
        .size:           2
        .value_kind:     hidden_remainder_z
      - .offset:         120
        .size:           8
        .value_kind:     hidden_global_offset_x
      - .offset:         128
        .size:           8
        .value_kind:     hidden_global_offset_y
      - .offset:         136
        .size:           8
        .value_kind:     hidden_global_offset_z
      - .offset:         144
        .size:           2
        .value_kind:     hidden_grid_dims
    .group_segment_fixed_size: 0
    .kernarg_segment_align: 8
    .kernarg_segment_size: 336
    .language:       OpenCL C
    .language_version:
      - 2
      - 0
    .max_flat_workgroup_size: 64
    .name:           _ZL33flash_attn_stream_k_fixup_generalILi64ELi1ELi1EEvPfPK15HIP_vector_typeIfLj2EEiiiiS1_IjLj3EES5_S5_S5_
    .private_segment_fixed_size: 0
    .sgpr_count:     38
    .sgpr_spill_count: 0
    .symbol:         _ZL33flash_attn_stream_k_fixup_generalILi64ELi1ELi1EEvPfPK15HIP_vector_typeIfLj2EEiiiiS1_IjLj3EES5_S5_S5_.kd
    .uniform_work_group_size: 1
    .uses_dynamic_stack: false
    .vgpr_count:     22
    .vgpr_spill_count: 0
    .wavefront_size: 64
  - .agpr_count:     0
    .args:
      - .address_space:  global
        .offset:         0
        .size:           8
        .value_kind:     global_buffer
      - .address_space:  global
        .offset:         8
        .size:           8
        .value_kind:     global_buffer
      - .address_space:  global
        .offset:         16
        .size:           8
        .value_kind:     global_buffer
      - .offset:         24
        .size:           4
        .value_kind:     by_value
      - .offset:         32
        .size:           4
        .value_kind:     hidden_block_count_x
      - .offset:         36
        .size:           4
        .value_kind:     hidden_block_count_y
      - .offset:         40
        .size:           4
        .value_kind:     hidden_block_count_z
      - .offset:         44
        .size:           2
        .value_kind:     hidden_group_size_x
      - .offset:         46
        .size:           2
        .value_kind:     hidden_group_size_y
      - .offset:         48
        .size:           2
        .value_kind:     hidden_group_size_z
      - .offset:         50
        .size:           2
        .value_kind:     hidden_remainder_x
      - .offset:         52
        .size:           2
        .value_kind:     hidden_remainder_y
      - .offset:         54
        .size:           2
        .value_kind:     hidden_remainder_z
      - .offset:         72
        .size:           8
        .value_kind:     hidden_global_offset_x
      - .offset:         80
        .size:           8
        .value_kind:     hidden_global_offset_y
      - .offset:         88
        .size:           8
        .value_kind:     hidden_global_offset_z
      - .offset:         96
        .size:           2
        .value_kind:     hidden_grid_dims
      - .offset:         152
        .size:           4
        .value_kind:     hidden_dynamic_lds_size
    .group_segment_fixed_size: 0
    .kernarg_segment_align: 8
    .kernarg_segment_size: 288
    .language:       OpenCL C
    .language_version:
      - 2
      - 0
    .max_flat_workgroup_size: 64
    .name:           _ZL26flash_attn_combine_resultsILi64EEvPKfPK15HIP_vector_typeIfLj2EEPfi
    .private_segment_fixed_size: 0
    .sgpr_count:     32
    .sgpr_spill_count: 0
    .symbol:         _ZL26flash_attn_combine_resultsILi64EEvPKfPK15HIP_vector_typeIfLj2EEPfi.kd
    .uniform_work_group_size: 1
    .uses_dynamic_stack: false
    .vgpr_count:     51
    .vgpr_spill_count: 0
    .wavefront_size: 64
  - .agpr_count:     0
    .args:
      - .address_space:  global
        .offset:         0
        .size:           8
        .value_kind:     global_buffer
      - .address_space:  global
        .offset:         8
        .size:           8
        .value_kind:     global_buffer
      - .address_space:  global
        .offset:         16
        .size:           8
        .value_kind:     global_buffer
      - .address_space:  global
        .offset:         24
        .size:           8
        .value_kind:     global_buffer
      - .address_space:  global
        .offset:         32
        .size:           8
        .value_kind:     global_buffer
      - .address_space:  global
        .offset:         40
        .size:           8
        .value_kind:     global_buffer
      - .address_space:  global
        .offset:         48
        .size:           8
        .value_kind:     global_buffer
      - .address_space:  global
        .offset:         56
        .size:           8
        .value_kind:     global_buffer
      - .offset:         64
        .size:           4
        .value_kind:     by_value
      - .offset:         68
        .size:           4
        .value_kind:     by_value
      - .offset:         72
        .size:           4
        .value_kind:     by_value
      - .offset:         76
        .size:           4
        .value_kind:     by_value
      - .offset:         80
        .size:           4
        .value_kind:     by_value
      - .offset:         84
        .size:           4
        .value_kind:     by_value
      - .offset:         88
        .size:           4
        .value_kind:     by_value
      - .offset:         92
        .size:           12
        .value_kind:     by_value
      - .offset:         104
        .size:           4
        .value_kind:     by_value
      - .offset:         108
        .size:           4
        .value_kind:     by_value
      - .offset:         112
        .size:           4
        .value_kind:     by_value
      - .offset:         116
        .size:           4
        .value_kind:     by_value
      - .offset:         120
        .size:           4
        .value_kind:     by_value
      - .offset:         124
        .size:           4
        .value_kind:     by_value
      - .offset:         128
        .size:           4
        .value_kind:     by_value
      - .offset:         132
        .size:           4
        .value_kind:     by_value
      - .offset:         136
        .size:           4
        .value_kind:     by_value
      - .offset:         140
        .size:           4
        .value_kind:     by_value
      - .offset:         144
        .size:           4
        .value_kind:     by_value
      - .offset:         152
        .size:           8
        .value_kind:     by_value
      - .offset:         160
        .size:           4
        .value_kind:     by_value
      - .offset:         164
        .size:           4
        .value_kind:     by_value
      - .offset:         168
        .size:           8
        .value_kind:     by_value
      - .offset:         176
        .size:           4
        .value_kind:     by_value
      - .offset:         180
        .size:           4
        .value_kind:     by_value
      - .offset:         184
        .size:           4
        .value_kind:     by_value
      - .offset:         188
        .size:           4
        .value_kind:     by_value
      - .offset:         192
        .size:           4
        .value_kind:     by_value
      - .offset:         200
        .size:           8
        .value_kind:     by_value
      - .offset:         208
        .size:           4
        .value_kind:     hidden_block_count_x
      - .offset:         212
        .size:           4
        .value_kind:     hidden_block_count_y
      - .offset:         216
        .size:           4
        .value_kind:     hidden_block_count_z
      - .offset:         220
        .size:           2
        .value_kind:     hidden_group_size_x
      - .offset:         222
        .size:           2
        .value_kind:     hidden_group_size_y
      - .offset:         224
        .size:           2
        .value_kind:     hidden_group_size_z
      - .offset:         226
        .size:           2
        .value_kind:     hidden_remainder_x
      - .offset:         228
        .size:           2
        .value_kind:     hidden_remainder_y
      - .offset:         230
        .size:           2
        .value_kind:     hidden_remainder_z
      - .offset:         248
        .size:           8
        .value_kind:     hidden_global_offset_x
      - .offset:         256
        .size:           8
        .value_kind:     hidden_global_offset_y
      - .offset:         264
        .size:           8
        .value_kind:     hidden_global_offset_z
      - .offset:         272
        .size:           2
        .value_kind:     hidden_grid_dims
      - .offset:         288
        .size:           8
        .value_kind:     hidden_hostcall_buffer
    .group_segment_fixed_size: 0
    .kernarg_segment_align: 8
    .kernarg_segment_size: 464
    .language:       OpenCL C
    .language_version:
      - 2
      - 0
    .max_flat_workgroup_size: 128
    .name:           _ZL18flash_attn_ext_vecILi64ELi1EL9ggml_type2ELS0_30ELb1EEvPKcS2_S2_S2_S2_PKiPfP15HIP_vector_typeIfLj2EEffffjfiS6_IjLj3EEiiiiiiiiiiiliiliiiiil
    .private_segment_fixed_size: 16
    .sgpr_count:     40
    .sgpr_spill_count: 0
    .symbol:         _ZL18flash_attn_ext_vecILi64ELi1EL9ggml_type2ELS0_30ELb1EEvPKcS2_S2_S2_S2_PKiPfP15HIP_vector_typeIfLj2EEffffjfiS6_IjLj3EEiiiiiiiiiiiliiliiiiil.kd
    .uniform_work_group_size: 1
    .uses_dynamic_stack: false
    .vgpr_count:     39
    .vgpr_spill_count: 0
    .wavefront_size: 64
  - .agpr_count:     0
    .args:
      - .address_space:  global
        .offset:         0
        .size:           8
        .value_kind:     global_buffer
      - .address_space:  global
        .offset:         8
        .size:           8
        .value_kind:     global_buffer
      - .address_space:  global
        .offset:         16
        .size:           8
        .value_kind:     global_buffer
      - .address_space:  global
        .offset:         24
        .size:           8
        .value_kind:     global_buffer
      - .address_space:  global
        .offset:         32
        .size:           8
        .value_kind:     global_buffer
      - .address_space:  global
        .offset:         40
        .size:           8
        .value_kind:     global_buffer
      - .address_space:  global
        .offset:         48
        .size:           8
        .value_kind:     global_buffer
      - .address_space:  global
        .offset:         56
        .size:           8
        .value_kind:     global_buffer
      - .offset:         64
        .size:           4
        .value_kind:     by_value
      - .offset:         68
        .size:           4
        .value_kind:     by_value
      - .offset:         72
        .size:           4
        .value_kind:     by_value
      - .offset:         76
        .size:           4
        .value_kind:     by_value
      - .offset:         80
        .size:           4
        .value_kind:     by_value
      - .offset:         84
        .size:           4
        .value_kind:     by_value
      - .offset:         88
        .size:           4
        .value_kind:     by_value
      - .offset:         92
        .size:           12
        .value_kind:     by_value
      - .offset:         104
        .size:           4
        .value_kind:     by_value
      - .offset:         108
        .size:           4
        .value_kind:     by_value
      - .offset:         112
        .size:           4
        .value_kind:     by_value
      - .offset:         116
        .size:           4
        .value_kind:     by_value
      - .offset:         120
        .size:           4
        .value_kind:     by_value
      - .offset:         124
        .size:           4
        .value_kind:     by_value
      - .offset:         128
        .size:           4
        .value_kind:     by_value
      - .offset:         132
        .size:           4
        .value_kind:     by_value
      - .offset:         136
        .size:           4
        .value_kind:     by_value
      - .offset:         140
        .size:           4
        .value_kind:     by_value
      - .offset:         144
        .size:           4
        .value_kind:     by_value
      - .offset:         152
        .size:           8
        .value_kind:     by_value
      - .offset:         160
        .size:           4
        .value_kind:     by_value
      - .offset:         164
        .size:           4
        .value_kind:     by_value
      - .offset:         168
        .size:           8
        .value_kind:     by_value
      - .offset:         176
        .size:           4
        .value_kind:     by_value
      - .offset:         180
        .size:           4
        .value_kind:     by_value
      - .offset:         184
        .size:           4
        .value_kind:     by_value
      - .offset:         188
        .size:           4
        .value_kind:     by_value
      - .offset:         192
        .size:           4
        .value_kind:     by_value
      - .offset:         200
        .size:           8
        .value_kind:     by_value
      - .offset:         208
        .size:           4
        .value_kind:     hidden_block_count_x
      - .offset:         212
        .size:           4
        .value_kind:     hidden_block_count_y
      - .offset:         216
        .size:           4
        .value_kind:     hidden_block_count_z
      - .offset:         220
        .size:           2
        .value_kind:     hidden_group_size_x
      - .offset:         222
        .size:           2
        .value_kind:     hidden_group_size_y
      - .offset:         224
        .size:           2
        .value_kind:     hidden_group_size_z
      - .offset:         226
        .size:           2
        .value_kind:     hidden_remainder_x
      - .offset:         228
        .size:           2
        .value_kind:     hidden_remainder_y
      - .offset:         230
        .size:           2
        .value_kind:     hidden_remainder_z
      - .offset:         248
        .size:           8
        .value_kind:     hidden_global_offset_x
      - .offset:         256
        .size:           8
        .value_kind:     hidden_global_offset_y
      - .offset:         264
        .size:           8
        .value_kind:     hidden_global_offset_z
      - .offset:         272
        .size:           2
        .value_kind:     hidden_grid_dims
    .group_segment_fixed_size: 2560
    .kernarg_segment_align: 8
    .kernarg_segment_size: 464
    .language:       OpenCL C
    .language_version:
      - 2
      - 0
    .max_flat_workgroup_size: 128
    .name:           _ZL18flash_attn_ext_vecILi64ELi2EL9ggml_type2ELS0_30ELb0EEvPKcS2_S2_S2_S2_PKiPfP15HIP_vector_typeIfLj2EEffffjfiS6_IjLj3EEiiiiiiiiiiiliiliiiiil
    .private_segment_fixed_size: 48
    .sgpr_count:     78
    .sgpr_spill_count: 0
    .symbol:         _ZL18flash_attn_ext_vecILi64ELi2EL9ggml_type2ELS0_30ELb0EEvPKcS2_S2_S2_S2_PKiPfP15HIP_vector_typeIfLj2EEffffjfiS6_IjLj3EEiiiiiiiiiiiliiliiiiil.kd
    .uniform_work_group_size: 1
    .uses_dynamic_stack: false
    .vgpr_count:     117
    .vgpr_spill_count: 0
    .wavefront_size: 64
  - .agpr_count:     0
    .args:
      - .actual_access:  read_only
        .address_space:  global
        .offset:         0
        .size:           8
        .value_kind:     global_buffer
      - .actual_access:  write_only
        .address_space:  global
        .offset:         8
        .size:           8
        .value_kind:     global_buffer
      - .offset:         16
        .size:           4
        .value_kind:     by_value
      - .offset:         20
        .size:           4
        .value_kind:     by_value
      - .offset:         24
        .size:           4
        .value_kind:     by_value
      - .offset:         32
        .size:           4
        .value_kind:     hidden_block_count_x
      - .offset:         36
        .size:           4
        .value_kind:     hidden_block_count_y
      - .offset:         40
        .size:           4
        .value_kind:     hidden_block_count_z
      - .offset:         44
        .size:           2
        .value_kind:     hidden_group_size_x
      - .offset:         46
        .size:           2
        .value_kind:     hidden_group_size_y
      - .offset:         48
        .size:           2
        .value_kind:     hidden_group_size_z
      - .offset:         50
        .size:           2
        .value_kind:     hidden_remainder_x
      - .offset:         52
        .size:           2
        .value_kind:     hidden_remainder_y
      - .offset:         54
        .size:           2
        .value_kind:     hidden_remainder_z
      - .offset:         72
        .size:           8
        .value_kind:     hidden_global_offset_x
      - .offset:         80
        .size:           8
        .value_kind:     hidden_global_offset_y
      - .offset:         88
        .size:           8
        .value_kind:     hidden_global_offset_z
      - .offset:         96
        .size:           2
        .value_kind:     hidden_grid_dims
    .group_segment_fixed_size: 128
    .kernarg_segment_align: 8
    .kernarg_segment_size: 288
    .language:       OpenCL C
    .language_version:
      - 2
      - 0
    .max_flat_workgroup_size: 128
    .name:           _ZL25flash_attn_mask_to_KV_maxILi2EEvPK7__half2Piiii
    .private_segment_fixed_size: 0
    .sgpr_count:     32
    .sgpr_spill_count: 0
    .symbol:         _ZL25flash_attn_mask_to_KV_maxILi2EEvPK7__half2Piiii.kd
    .uniform_work_group_size: 1
    .uses_dynamic_stack: false
    .vgpr_count:     17
    .vgpr_spill_count: 0
    .wavefront_size: 64
  - .agpr_count:     0
    .args:
      - .address_space:  global
        .offset:         0
        .size:           8
        .value_kind:     global_buffer
      - .address_space:  global
        .offset:         8
        .size:           8
        .value_kind:     global_buffer
      - .offset:         16
        .size:           4
        .value_kind:     by_value
      - .offset:         20
        .size:           4
        .value_kind:     by_value
      - .offset:         24
        .size:           4
        .value_kind:     by_value
      - .offset:         28
        .size:           4
        .value_kind:     by_value
      - .offset:         32
        .size:           4
        .value_kind:     by_value
      - .offset:         36
        .size:           4
        .value_kind:     by_value
      - .offset:         40
        .size:           12
        .value_kind:     by_value
      - .offset:         52
        .size:           12
        .value_kind:     by_value
      - .offset:         64
        .size:           12
        .value_kind:     by_value
    .group_segment_fixed_size: 0
    .kernarg_segment_align: 8
    .kernarg_segment_size: 76
    .language:       OpenCL C
    .language_version:
      - 2
      - 0
    .max_flat_workgroup_size: 64
    .name:           _ZL33flash_attn_stream_k_fixup_uniformILi64ELi2ELi1EEvPfPK15HIP_vector_typeIfLj2EEiiiiiiS1_IjLj3EES5_S5_
    .private_segment_fixed_size: 0
    .sgpr_count:     30
    .sgpr_spill_count: 0
    .symbol:         _ZL33flash_attn_stream_k_fixup_uniformILi64ELi2ELi1EEvPfPK15HIP_vector_typeIfLj2EEiiiiiiS1_IjLj3EES5_S5_.kd
    .uniform_work_group_size: 1
    .uses_dynamic_stack: false
    .vgpr_count:     16
    .vgpr_spill_count: 0
    .wavefront_size: 64
  - .agpr_count:     0
    .args:
      - .address_space:  global
        .offset:         0
        .size:           8
        .value_kind:     global_buffer
      - .address_space:  global
        .offset:         8
        .size:           8
        .value_kind:     global_buffer
      - .offset:         16
        .size:           4
        .value_kind:     by_value
      - .offset:         20
        .size:           4
        .value_kind:     by_value
      - .offset:         24
        .size:           4
        .value_kind:     by_value
      - .offset:         28
        .size:           4
        .value_kind:     by_value
      - .offset:         32
        .size:           12
        .value_kind:     by_value
      - .offset:         44
        .size:           12
        .value_kind:     by_value
      - .offset:         56
        .size:           12
        .value_kind:     by_value
      - .offset:         68
        .size:           12
        .value_kind:     by_value
      - .offset:         80
        .size:           4
        .value_kind:     hidden_block_count_x
      - .offset:         84
        .size:           4
        .value_kind:     hidden_block_count_y
      - .offset:         88
        .size:           4
        .value_kind:     hidden_block_count_z
      - .offset:         92
        .size:           2
        .value_kind:     hidden_group_size_x
      - .offset:         94
        .size:           2
        .value_kind:     hidden_group_size_y
      - .offset:         96
        .size:           2
        .value_kind:     hidden_group_size_z
      - .offset:         98
        .size:           2
        .value_kind:     hidden_remainder_x
      - .offset:         100
        .size:           2
        .value_kind:     hidden_remainder_y
      - .offset:         102
        .size:           2
        .value_kind:     hidden_remainder_z
      - .offset:         120
        .size:           8
        .value_kind:     hidden_global_offset_x
      - .offset:         128
        .size:           8
        .value_kind:     hidden_global_offset_y
      - .offset:         136
        .size:           8
        .value_kind:     hidden_global_offset_z
      - .offset:         144
        .size:           2
        .value_kind:     hidden_grid_dims
    .group_segment_fixed_size: 0
    .kernarg_segment_align: 8
    .kernarg_segment_size: 336
    .language:       OpenCL C
    .language_version:
      - 2
      - 0
    .max_flat_workgroup_size: 64
    .name:           _ZL33flash_attn_stream_k_fixup_generalILi64ELi2ELi1EEvPfPK15HIP_vector_typeIfLj2EEiiiiS1_IjLj3EES5_S5_S5_
    .private_segment_fixed_size: 0
    .sgpr_count:     38
    .sgpr_spill_count: 0
    .symbol:         _ZL33flash_attn_stream_k_fixup_generalILi64ELi2ELi1EEvPfPK15HIP_vector_typeIfLj2EEiiiiS1_IjLj3EES5_S5_S5_.kd
    .uniform_work_group_size: 1
    .uses_dynamic_stack: false
    .vgpr_count:     22
    .vgpr_spill_count: 0
    .wavefront_size: 64
  - .agpr_count:     0
    .args:
      - .address_space:  global
        .offset:         0
        .size:           8
        .value_kind:     global_buffer
      - .address_space:  global
        .offset:         8
        .size:           8
        .value_kind:     global_buffer
      - .address_space:  global
        .offset:         16
        .size:           8
        .value_kind:     global_buffer
      - .address_space:  global
        .offset:         24
        .size:           8
        .value_kind:     global_buffer
      - .address_space:  global
        .offset:         32
        .size:           8
        .value_kind:     global_buffer
      - .address_space:  global
        .offset:         40
        .size:           8
        .value_kind:     global_buffer
      - .address_space:  global
        .offset:         48
        .size:           8
        .value_kind:     global_buffer
      - .address_space:  global
        .offset:         56
        .size:           8
        .value_kind:     global_buffer
      - .offset:         64
        .size:           4
        .value_kind:     by_value
      - .offset:         68
        .size:           4
        .value_kind:     by_value
      - .offset:         72
        .size:           4
        .value_kind:     by_value
      - .offset:         76
        .size:           4
        .value_kind:     by_value
      - .offset:         80
        .size:           4
        .value_kind:     by_value
      - .offset:         84
        .size:           4
        .value_kind:     by_value
      - .offset:         88
        .size:           4
        .value_kind:     by_value
      - .offset:         92
        .size:           12
        .value_kind:     by_value
      - .offset:         104
        .size:           4
        .value_kind:     by_value
      - .offset:         108
        .size:           4
        .value_kind:     by_value
      - .offset:         112
        .size:           4
        .value_kind:     by_value
      - .offset:         116
        .size:           4
        .value_kind:     by_value
      - .offset:         120
        .size:           4
        .value_kind:     by_value
      - .offset:         124
        .size:           4
        .value_kind:     by_value
      - .offset:         128
        .size:           4
        .value_kind:     by_value
      - .offset:         132
        .size:           4
        .value_kind:     by_value
      - .offset:         136
        .size:           4
        .value_kind:     by_value
      - .offset:         140
        .size:           4
        .value_kind:     by_value
      - .offset:         144
        .size:           4
        .value_kind:     by_value
      - .offset:         152
        .size:           8
        .value_kind:     by_value
      - .offset:         160
        .size:           4
        .value_kind:     by_value
      - .offset:         164
        .size:           4
        .value_kind:     by_value
      - .offset:         168
        .size:           8
        .value_kind:     by_value
      - .offset:         176
        .size:           4
        .value_kind:     by_value
      - .offset:         180
        .size:           4
        .value_kind:     by_value
      - .offset:         184
        .size:           4
        .value_kind:     by_value
      - .offset:         188
        .size:           4
        .value_kind:     by_value
      - .offset:         192
        .size:           4
        .value_kind:     by_value
      - .offset:         200
        .size:           8
        .value_kind:     by_value
      - .offset:         208
        .size:           4
        .value_kind:     hidden_block_count_x
      - .offset:         212
        .size:           4
        .value_kind:     hidden_block_count_y
      - .offset:         216
        .size:           4
        .value_kind:     hidden_block_count_z
      - .offset:         220
        .size:           2
        .value_kind:     hidden_group_size_x
      - .offset:         222
        .size:           2
        .value_kind:     hidden_group_size_y
      - .offset:         224
        .size:           2
        .value_kind:     hidden_group_size_z
      - .offset:         226
        .size:           2
        .value_kind:     hidden_remainder_x
      - .offset:         228
        .size:           2
        .value_kind:     hidden_remainder_y
      - .offset:         230
        .size:           2
        .value_kind:     hidden_remainder_z
      - .offset:         248
        .size:           8
        .value_kind:     hidden_global_offset_x
      - .offset:         256
        .size:           8
        .value_kind:     hidden_global_offset_y
      - .offset:         264
        .size:           8
        .value_kind:     hidden_global_offset_z
      - .offset:         272
        .size:           2
        .value_kind:     hidden_grid_dims
      - .offset:         288
        .size:           8
        .value_kind:     hidden_hostcall_buffer
    .group_segment_fixed_size: 0
    .kernarg_segment_align: 8
    .kernarg_segment_size: 464
    .language:       OpenCL C
    .language_version:
      - 2
      - 0
    .max_flat_workgroup_size: 128
    .name:           _ZL18flash_attn_ext_vecILi64ELi2EL9ggml_type2ELS0_30ELb1EEvPKcS2_S2_S2_S2_PKiPfP15HIP_vector_typeIfLj2EEffffjfiS6_IjLj3EEiiiiiiiiiiiliiliiiiil
    .private_segment_fixed_size: 16
    .sgpr_count:     40
    .sgpr_spill_count: 0
    .symbol:         _ZL18flash_attn_ext_vecILi64ELi2EL9ggml_type2ELS0_30ELb1EEvPKcS2_S2_S2_S2_PKiPfP15HIP_vector_typeIfLj2EEffffjfiS6_IjLj3EEiiiiiiiiiiiliiliiiiil.kd
    .uniform_work_group_size: 1
    .uses_dynamic_stack: false
    .vgpr_count:     39
    .vgpr_spill_count: 0
    .wavefront_size: 64
  - .agpr_count:     0
    .args:
      - .address_space:  global
        .offset:         0
        .size:           8
        .value_kind:     global_buffer
      - .address_space:  global
        .offset:         8
        .size:           8
        .value_kind:     global_buffer
      - .address_space:  global
        .offset:         16
        .size:           8
        .value_kind:     global_buffer
      - .address_space:  global
        .offset:         24
        .size:           8
        .value_kind:     global_buffer
      - .address_space:  global
        .offset:         32
        .size:           8
        .value_kind:     global_buffer
      - .address_space:  global
        .offset:         40
        .size:           8
        .value_kind:     global_buffer
      - .address_space:  global
        .offset:         48
        .size:           8
        .value_kind:     global_buffer
      - .address_space:  global
        .offset:         56
        .size:           8
        .value_kind:     global_buffer
      - .offset:         64
        .size:           4
        .value_kind:     by_value
      - .offset:         68
        .size:           4
        .value_kind:     by_value
      - .offset:         72
        .size:           4
        .value_kind:     by_value
      - .offset:         76
        .size:           4
        .value_kind:     by_value
      - .offset:         80
        .size:           4
        .value_kind:     by_value
      - .offset:         84
        .size:           4
        .value_kind:     by_value
      - .offset:         88
        .size:           4
        .value_kind:     by_value
      - .offset:         92
        .size:           12
        .value_kind:     by_value
      - .offset:         104
        .size:           4
        .value_kind:     by_value
      - .offset:         108
        .size:           4
        .value_kind:     by_value
      - .offset:         112
        .size:           4
        .value_kind:     by_value
      - .offset:         116
        .size:           4
        .value_kind:     by_value
      - .offset:         120
        .size:           4
        .value_kind:     by_value
      - .offset:         124
        .size:           4
        .value_kind:     by_value
      - .offset:         128
        .size:           4
        .value_kind:     by_value
      - .offset:         132
        .size:           4
        .value_kind:     by_value
      - .offset:         136
        .size:           4
        .value_kind:     by_value
      - .offset:         140
        .size:           4
        .value_kind:     by_value
      - .offset:         144
        .size:           4
        .value_kind:     by_value
      - .offset:         152
        .size:           8
        .value_kind:     by_value
      - .offset:         160
        .size:           4
        .value_kind:     by_value
      - .offset:         164
        .size:           4
        .value_kind:     by_value
      - .offset:         168
        .size:           8
        .value_kind:     by_value
      - .offset:         176
        .size:           4
        .value_kind:     by_value
      - .offset:         180
        .size:           4
        .value_kind:     by_value
      - .offset:         184
        .size:           4
        .value_kind:     by_value
      - .offset:         188
        .size:           4
        .value_kind:     by_value
      - .offset:         192
        .size:           4
        .value_kind:     by_value
      - .offset:         200
        .size:           8
        .value_kind:     by_value
      - .offset:         208
        .size:           4
        .value_kind:     hidden_block_count_x
      - .offset:         212
        .size:           4
        .value_kind:     hidden_block_count_y
      - .offset:         216
        .size:           4
        .value_kind:     hidden_block_count_z
      - .offset:         220
        .size:           2
        .value_kind:     hidden_group_size_x
      - .offset:         222
        .size:           2
        .value_kind:     hidden_group_size_y
      - .offset:         224
        .size:           2
        .value_kind:     hidden_group_size_z
      - .offset:         226
        .size:           2
        .value_kind:     hidden_remainder_x
      - .offset:         228
        .size:           2
        .value_kind:     hidden_remainder_y
      - .offset:         230
        .size:           2
        .value_kind:     hidden_remainder_z
      - .offset:         248
        .size:           8
        .value_kind:     hidden_global_offset_x
      - .offset:         256
        .size:           8
        .value_kind:     hidden_global_offset_y
      - .offset:         264
        .size:           8
        .value_kind:     hidden_global_offset_z
      - .offset:         272
        .size:           2
        .value_kind:     hidden_grid_dims
    .group_segment_fixed_size: 4352
    .kernarg_segment_align: 8
    .kernarg_segment_size: 464
    .language:       OpenCL C
    .language_version:
      - 2
      - 0
    .max_flat_workgroup_size: 128
    .name:           _ZL18flash_attn_ext_vecILi128ELi1EL9ggml_type2ELS0_30ELb0EEvPKcS2_S2_S2_S2_PKiPfP15HIP_vector_typeIfLj2EEffffjfiS6_IjLj3EEiiiiiiiiiiiliiliiiiil
    .private_segment_fixed_size: 0
    .sgpr_count:     72
    .sgpr_spill_count: 0
    .symbol:         _ZL18flash_attn_ext_vecILi128ELi1EL9ggml_type2ELS0_30ELb0EEvPKcS2_S2_S2_S2_PKiPfP15HIP_vector_typeIfLj2EEffffjfiS6_IjLj3EEiiiiiiiiiiiliiliiiiil.kd
    .uniform_work_group_size: 1
    .uses_dynamic_stack: false
    .vgpr_count:     108
    .vgpr_spill_count: 0
    .wavefront_size: 64
  - .agpr_count:     0
    .args:
      - .address_space:  global
        .offset:         0
        .size:           8
        .value_kind:     global_buffer
      - .address_space:  global
        .offset:         8
        .size:           8
        .value_kind:     global_buffer
      - .offset:         16
        .size:           4
        .value_kind:     by_value
      - .offset:         20
        .size:           4
        .value_kind:     by_value
      - .offset:         24
        .size:           4
        .value_kind:     by_value
      - .offset:         28
        .size:           4
        .value_kind:     by_value
      - .offset:         32
        .size:           4
        .value_kind:     by_value
      - .offset:         36
        .size:           4
        .value_kind:     by_value
      - .offset:         40
        .size:           12
        .value_kind:     by_value
      - .offset:         52
        .size:           12
        .value_kind:     by_value
      - .offset:         64
        .size:           12
        .value_kind:     by_value
    .group_segment_fixed_size: 0
    .kernarg_segment_align: 8
    .kernarg_segment_size: 76
    .language:       OpenCL C
    .language_version:
      - 2
      - 0
    .max_flat_workgroup_size: 128
    .name:           _ZL33flash_attn_stream_k_fixup_uniformILi128ELi1ELi1EEvPfPK15HIP_vector_typeIfLj2EEiiiiiiS1_IjLj3EES5_S5_
    .private_segment_fixed_size: 0
    .sgpr_count:     26
    .sgpr_spill_count: 0
    .symbol:         _ZL33flash_attn_stream_k_fixup_uniformILi128ELi1ELi1EEvPfPK15HIP_vector_typeIfLj2EEiiiiiiS1_IjLj3EES5_S5_.kd
    .uniform_work_group_size: 1
    .uses_dynamic_stack: false
    .vgpr_count:     16
    .vgpr_spill_count: 0
    .wavefront_size: 64
  - .agpr_count:     0
    .args:
      - .address_space:  global
        .offset:         0
        .size:           8
        .value_kind:     global_buffer
      - .address_space:  global
        .offset:         8
        .size:           8
        .value_kind:     global_buffer
      - .offset:         16
        .size:           4
        .value_kind:     by_value
      - .offset:         20
        .size:           4
        .value_kind:     by_value
      - .offset:         24
        .size:           4
        .value_kind:     by_value
      - .offset:         28
        .size:           4
        .value_kind:     by_value
      - .offset:         32
        .size:           12
        .value_kind:     by_value
      - .offset:         44
        .size:           12
        .value_kind:     by_value
      - .offset:         56
        .size:           12
        .value_kind:     by_value
      - .offset:         68
        .size:           12
        .value_kind:     by_value
      - .offset:         80
        .size:           4
        .value_kind:     hidden_block_count_x
      - .offset:         84
        .size:           4
        .value_kind:     hidden_block_count_y
      - .offset:         88
        .size:           4
        .value_kind:     hidden_block_count_z
      - .offset:         92
        .size:           2
        .value_kind:     hidden_group_size_x
      - .offset:         94
        .size:           2
        .value_kind:     hidden_group_size_y
      - .offset:         96
        .size:           2
        .value_kind:     hidden_group_size_z
      - .offset:         98
        .size:           2
        .value_kind:     hidden_remainder_x
      - .offset:         100
        .size:           2
        .value_kind:     hidden_remainder_y
      - .offset:         102
        .size:           2
        .value_kind:     hidden_remainder_z
      - .offset:         120
        .size:           8
        .value_kind:     hidden_global_offset_x
      - .offset:         128
        .size:           8
        .value_kind:     hidden_global_offset_y
      - .offset:         136
        .size:           8
        .value_kind:     hidden_global_offset_z
      - .offset:         144
        .size:           2
        .value_kind:     hidden_grid_dims
    .group_segment_fixed_size: 0
    .kernarg_segment_align: 8
    .kernarg_segment_size: 336
    .language:       OpenCL C
    .language_version:
      - 2
      - 0
    .max_flat_workgroup_size: 128
    .name:           _ZL33flash_attn_stream_k_fixup_generalILi128ELi1ELi1EEvPfPK15HIP_vector_typeIfLj2EEiiiiS1_IjLj3EES5_S5_S5_
    .private_segment_fixed_size: 0
    .sgpr_count:     38
    .sgpr_spill_count: 0
    .symbol:         _ZL33flash_attn_stream_k_fixup_generalILi128ELi1ELi1EEvPfPK15HIP_vector_typeIfLj2EEiiiiS1_IjLj3EES5_S5_S5_.kd
    .uniform_work_group_size: 1
    .uses_dynamic_stack: false
    .vgpr_count:     22
    .vgpr_spill_count: 0
    .wavefront_size: 64
  - .agpr_count:     0
    .args:
      - .address_space:  global
        .offset:         0
        .size:           8
        .value_kind:     global_buffer
      - .address_space:  global
        .offset:         8
        .size:           8
        .value_kind:     global_buffer
      - .address_space:  global
        .offset:         16
        .size:           8
        .value_kind:     global_buffer
      - .offset:         24
        .size:           4
        .value_kind:     by_value
      - .offset:         32
        .size:           4
        .value_kind:     hidden_block_count_x
      - .offset:         36
        .size:           4
        .value_kind:     hidden_block_count_y
      - .offset:         40
        .size:           4
        .value_kind:     hidden_block_count_z
      - .offset:         44
        .size:           2
        .value_kind:     hidden_group_size_x
      - .offset:         46
        .size:           2
        .value_kind:     hidden_group_size_y
      - .offset:         48
        .size:           2
        .value_kind:     hidden_group_size_z
      - .offset:         50
        .size:           2
        .value_kind:     hidden_remainder_x
      - .offset:         52
        .size:           2
        .value_kind:     hidden_remainder_y
      - .offset:         54
        .size:           2
        .value_kind:     hidden_remainder_z
      - .offset:         72
        .size:           8
        .value_kind:     hidden_global_offset_x
      - .offset:         80
        .size:           8
        .value_kind:     hidden_global_offset_y
      - .offset:         88
        .size:           8
        .value_kind:     hidden_global_offset_z
      - .offset:         96
        .size:           2
        .value_kind:     hidden_grid_dims
      - .offset:         152
        .size:           4
        .value_kind:     hidden_dynamic_lds_size
    .group_segment_fixed_size: 0
    .kernarg_segment_align: 8
    .kernarg_segment_size: 288
    .language:       OpenCL C
    .language_version:
      - 2
      - 0
    .max_flat_workgroup_size: 128
    .name:           _ZL26flash_attn_combine_resultsILi128EEvPKfPK15HIP_vector_typeIfLj2EEPfi
    .private_segment_fixed_size: 0
    .sgpr_count:     32
    .sgpr_spill_count: 0
    .symbol:         _ZL26flash_attn_combine_resultsILi128EEvPKfPK15HIP_vector_typeIfLj2EEPfi.kd
    .uniform_work_group_size: 1
    .uses_dynamic_stack: false
    .vgpr_count:     51
    .vgpr_spill_count: 0
    .wavefront_size: 64
  - .agpr_count:     0
    .args:
      - .address_space:  global
        .offset:         0
        .size:           8
        .value_kind:     global_buffer
      - .address_space:  global
        .offset:         8
        .size:           8
        .value_kind:     global_buffer
      - .address_space:  global
        .offset:         16
        .size:           8
        .value_kind:     global_buffer
      - .address_space:  global
        .offset:         24
        .size:           8
        .value_kind:     global_buffer
      - .address_space:  global
        .offset:         32
        .size:           8
        .value_kind:     global_buffer
      - .address_space:  global
        .offset:         40
        .size:           8
        .value_kind:     global_buffer
      - .address_space:  global
        .offset:         48
        .size:           8
        .value_kind:     global_buffer
      - .address_space:  global
        .offset:         56
        .size:           8
        .value_kind:     global_buffer
      - .offset:         64
        .size:           4
        .value_kind:     by_value
      - .offset:         68
        .size:           4
        .value_kind:     by_value
      - .offset:         72
        .size:           4
        .value_kind:     by_value
      - .offset:         76
        .size:           4
        .value_kind:     by_value
      - .offset:         80
        .size:           4
        .value_kind:     by_value
      - .offset:         84
        .size:           4
        .value_kind:     by_value
      - .offset:         88
        .size:           4
        .value_kind:     by_value
      - .offset:         92
        .size:           12
        .value_kind:     by_value
      - .offset:         104
        .size:           4
        .value_kind:     by_value
      - .offset:         108
        .size:           4
        .value_kind:     by_value
      - .offset:         112
        .size:           4
        .value_kind:     by_value
      - .offset:         116
        .size:           4
        .value_kind:     by_value
      - .offset:         120
        .size:           4
        .value_kind:     by_value
      - .offset:         124
        .size:           4
        .value_kind:     by_value
      - .offset:         128
        .size:           4
        .value_kind:     by_value
      - .offset:         132
        .size:           4
        .value_kind:     by_value
      - .offset:         136
        .size:           4
        .value_kind:     by_value
      - .offset:         140
        .size:           4
        .value_kind:     by_value
      - .offset:         144
        .size:           4
        .value_kind:     by_value
      - .offset:         152
        .size:           8
        .value_kind:     by_value
      - .offset:         160
        .size:           4
        .value_kind:     by_value
      - .offset:         164
        .size:           4
        .value_kind:     by_value
      - .offset:         168
        .size:           8
        .value_kind:     by_value
      - .offset:         176
        .size:           4
        .value_kind:     by_value
      - .offset:         180
        .size:           4
        .value_kind:     by_value
      - .offset:         184
        .size:           4
        .value_kind:     by_value
      - .offset:         188
        .size:           4
        .value_kind:     by_value
      - .offset:         192
        .size:           4
        .value_kind:     by_value
      - .offset:         200
        .size:           8
        .value_kind:     by_value
      - .offset:         208
        .size:           4
        .value_kind:     hidden_block_count_x
      - .offset:         212
        .size:           4
        .value_kind:     hidden_block_count_y
      - .offset:         216
        .size:           4
        .value_kind:     hidden_block_count_z
      - .offset:         220
        .size:           2
        .value_kind:     hidden_group_size_x
      - .offset:         222
        .size:           2
        .value_kind:     hidden_group_size_y
      - .offset:         224
        .size:           2
        .value_kind:     hidden_group_size_z
      - .offset:         226
        .size:           2
        .value_kind:     hidden_remainder_x
      - .offset:         228
        .size:           2
        .value_kind:     hidden_remainder_y
      - .offset:         230
        .size:           2
        .value_kind:     hidden_remainder_z
      - .offset:         248
        .size:           8
        .value_kind:     hidden_global_offset_x
      - .offset:         256
        .size:           8
        .value_kind:     hidden_global_offset_y
      - .offset:         264
        .size:           8
        .value_kind:     hidden_global_offset_z
      - .offset:         272
        .size:           2
        .value_kind:     hidden_grid_dims
    .group_segment_fixed_size: 4352
    .kernarg_segment_align: 8
    .kernarg_segment_size: 464
    .language:       OpenCL C
    .language_version:
      - 2
      - 0
    .max_flat_workgroup_size: 128
    .name:           _ZL18flash_attn_ext_vecILi128ELi1EL9ggml_type2ELS0_30ELb1EEvPKcS2_S2_S2_S2_PKiPfP15HIP_vector_typeIfLj2EEffffjfiS6_IjLj3EEiiiiiiiiiiiliiliiiiil
    .private_segment_fixed_size: 0
    .sgpr_count:     74
    .sgpr_spill_count: 0
    .symbol:         _ZL18flash_attn_ext_vecILi128ELi1EL9ggml_type2ELS0_30ELb1EEvPKcS2_S2_S2_S2_PKiPfP15HIP_vector_typeIfLj2EEffffjfiS6_IjLj3EEiiiiiiiiiiiliiliiiiil.kd
    .uniform_work_group_size: 1
    .uses_dynamic_stack: false
    .vgpr_count:     109
    .vgpr_spill_count: 0
    .wavefront_size: 64
  - .agpr_count:     0
    .args:
      - .address_space:  global
        .offset:         0
        .size:           8
        .value_kind:     global_buffer
      - .address_space:  global
        .offset:         8
        .size:           8
        .value_kind:     global_buffer
      - .address_space:  global
        .offset:         16
        .size:           8
        .value_kind:     global_buffer
      - .address_space:  global
        .offset:         24
        .size:           8
        .value_kind:     global_buffer
      - .address_space:  global
        .offset:         32
        .size:           8
        .value_kind:     global_buffer
      - .address_space:  global
        .offset:         40
        .size:           8
        .value_kind:     global_buffer
      - .address_space:  global
        .offset:         48
        .size:           8
        .value_kind:     global_buffer
      - .address_space:  global
        .offset:         56
        .size:           8
        .value_kind:     global_buffer
      - .offset:         64
        .size:           4
        .value_kind:     by_value
      - .offset:         68
        .size:           4
        .value_kind:     by_value
      - .offset:         72
        .size:           4
        .value_kind:     by_value
      - .offset:         76
        .size:           4
        .value_kind:     by_value
      - .offset:         80
        .size:           4
        .value_kind:     by_value
      - .offset:         84
        .size:           4
        .value_kind:     by_value
      - .offset:         88
        .size:           4
        .value_kind:     by_value
      - .offset:         92
        .size:           12
        .value_kind:     by_value
      - .offset:         104
        .size:           4
        .value_kind:     by_value
      - .offset:         108
        .size:           4
        .value_kind:     by_value
      - .offset:         112
        .size:           4
        .value_kind:     by_value
      - .offset:         116
        .size:           4
        .value_kind:     by_value
      - .offset:         120
        .size:           4
        .value_kind:     by_value
      - .offset:         124
        .size:           4
        .value_kind:     by_value
      - .offset:         128
        .size:           4
        .value_kind:     by_value
      - .offset:         132
        .size:           4
        .value_kind:     by_value
      - .offset:         136
        .size:           4
        .value_kind:     by_value
      - .offset:         140
        .size:           4
        .value_kind:     by_value
      - .offset:         144
        .size:           4
        .value_kind:     by_value
      - .offset:         152
        .size:           8
        .value_kind:     by_value
      - .offset:         160
        .size:           4
        .value_kind:     by_value
      - .offset:         164
        .size:           4
        .value_kind:     by_value
      - .offset:         168
        .size:           8
        .value_kind:     by_value
      - .offset:         176
        .size:           4
        .value_kind:     by_value
      - .offset:         180
        .size:           4
        .value_kind:     by_value
      - .offset:         184
        .size:           4
        .value_kind:     by_value
      - .offset:         188
        .size:           4
        .value_kind:     by_value
      - .offset:         192
        .size:           4
        .value_kind:     by_value
      - .offset:         200
        .size:           8
        .value_kind:     by_value
      - .offset:         208
        .size:           4
        .value_kind:     hidden_block_count_x
      - .offset:         212
        .size:           4
        .value_kind:     hidden_block_count_y
      - .offset:         216
        .size:           4
        .value_kind:     hidden_block_count_z
      - .offset:         220
        .size:           2
        .value_kind:     hidden_group_size_x
      - .offset:         222
        .size:           2
        .value_kind:     hidden_group_size_y
      - .offset:         224
        .size:           2
        .value_kind:     hidden_group_size_z
      - .offset:         226
        .size:           2
        .value_kind:     hidden_remainder_x
      - .offset:         228
        .size:           2
        .value_kind:     hidden_remainder_y
      - .offset:         230
        .size:           2
        .value_kind:     hidden_remainder_z
      - .offset:         248
        .size:           8
        .value_kind:     hidden_global_offset_x
      - .offset:         256
        .size:           8
        .value_kind:     hidden_global_offset_y
      - .offset:         264
        .size:           8
        .value_kind:     hidden_global_offset_z
      - .offset:         272
        .size:           2
        .value_kind:     hidden_grid_dims
    .group_segment_fixed_size: 4608
    .kernarg_segment_align: 8
    .kernarg_segment_size: 464
    .language:       OpenCL C
    .language_version:
      - 2
      - 0
    .max_flat_workgroup_size: 128
    .name:           _ZL18flash_attn_ext_vecILi128ELi2EL9ggml_type2ELS0_30ELb0EEvPKcS2_S2_S2_S2_PKiPfP15HIP_vector_typeIfLj2EEffffjfiS6_IjLj3EEiiiiiiiiiiiliiliiiiil
    .private_segment_fixed_size: 80
    .sgpr_count:     77
    .sgpr_spill_count: 0
    .symbol:         _ZL18flash_attn_ext_vecILi128ELi2EL9ggml_type2ELS0_30ELb0EEvPKcS2_S2_S2_S2_PKiPfP15HIP_vector_typeIfLj2EEffffjfiS6_IjLj3EEiiiiiiiiiiiliiliiiiil.kd
    .uniform_work_group_size: 1
    .uses_dynamic_stack: false
    .vgpr_count:     124
    .vgpr_spill_count: 0
    .wavefront_size: 64
  - .agpr_count:     0
    .args:
      - .address_space:  global
        .offset:         0
        .size:           8
        .value_kind:     global_buffer
      - .address_space:  global
        .offset:         8
        .size:           8
        .value_kind:     global_buffer
      - .offset:         16
        .size:           4
        .value_kind:     by_value
      - .offset:         20
        .size:           4
        .value_kind:     by_value
      - .offset:         24
        .size:           4
        .value_kind:     by_value
      - .offset:         28
        .size:           4
        .value_kind:     by_value
      - .offset:         32
        .size:           4
        .value_kind:     by_value
      - .offset:         36
        .size:           4
        .value_kind:     by_value
      - .offset:         40
        .size:           12
        .value_kind:     by_value
      - .offset:         52
        .size:           12
        .value_kind:     by_value
      - .offset:         64
        .size:           12
        .value_kind:     by_value
    .group_segment_fixed_size: 0
    .kernarg_segment_align: 8
    .kernarg_segment_size: 76
    .language:       OpenCL C
    .language_version:
      - 2
      - 0
    .max_flat_workgroup_size: 128
    .name:           _ZL33flash_attn_stream_k_fixup_uniformILi128ELi2ELi1EEvPfPK15HIP_vector_typeIfLj2EEiiiiiiS1_IjLj3EES5_S5_
    .private_segment_fixed_size: 0
    .sgpr_count:     30
    .sgpr_spill_count: 0
    .symbol:         _ZL33flash_attn_stream_k_fixup_uniformILi128ELi2ELi1EEvPfPK15HIP_vector_typeIfLj2EEiiiiiiS1_IjLj3EES5_S5_.kd
    .uniform_work_group_size: 1
    .uses_dynamic_stack: false
    .vgpr_count:     16
    .vgpr_spill_count: 0
    .wavefront_size: 64
  - .agpr_count:     0
    .args:
      - .address_space:  global
        .offset:         0
        .size:           8
        .value_kind:     global_buffer
      - .address_space:  global
        .offset:         8
        .size:           8
        .value_kind:     global_buffer
      - .offset:         16
        .size:           4
        .value_kind:     by_value
      - .offset:         20
        .size:           4
        .value_kind:     by_value
      - .offset:         24
        .size:           4
        .value_kind:     by_value
      - .offset:         28
        .size:           4
        .value_kind:     by_value
      - .offset:         32
        .size:           12
        .value_kind:     by_value
      - .offset:         44
        .size:           12
        .value_kind:     by_value
      - .offset:         56
        .size:           12
        .value_kind:     by_value
      - .offset:         68
        .size:           12
        .value_kind:     by_value
      - .offset:         80
        .size:           4
        .value_kind:     hidden_block_count_x
      - .offset:         84
        .size:           4
        .value_kind:     hidden_block_count_y
      - .offset:         88
        .size:           4
        .value_kind:     hidden_block_count_z
      - .offset:         92
        .size:           2
        .value_kind:     hidden_group_size_x
      - .offset:         94
        .size:           2
        .value_kind:     hidden_group_size_y
      - .offset:         96
        .size:           2
        .value_kind:     hidden_group_size_z
      - .offset:         98
        .size:           2
        .value_kind:     hidden_remainder_x
      - .offset:         100
        .size:           2
        .value_kind:     hidden_remainder_y
      - .offset:         102
        .size:           2
        .value_kind:     hidden_remainder_z
      - .offset:         120
        .size:           8
        .value_kind:     hidden_global_offset_x
      - .offset:         128
        .size:           8
        .value_kind:     hidden_global_offset_y
      - .offset:         136
        .size:           8
        .value_kind:     hidden_global_offset_z
      - .offset:         144
        .size:           2
        .value_kind:     hidden_grid_dims
    .group_segment_fixed_size: 0
    .kernarg_segment_align: 8
    .kernarg_segment_size: 336
    .language:       OpenCL C
    .language_version:
      - 2
      - 0
    .max_flat_workgroup_size: 128
    .name:           _ZL33flash_attn_stream_k_fixup_generalILi128ELi2ELi1EEvPfPK15HIP_vector_typeIfLj2EEiiiiS1_IjLj3EES5_S5_S5_
    .private_segment_fixed_size: 0
    .sgpr_count:     38
    .sgpr_spill_count: 0
    .symbol:         _ZL33flash_attn_stream_k_fixup_generalILi128ELi2ELi1EEvPfPK15HIP_vector_typeIfLj2EEiiiiS1_IjLj3EES5_S5_S5_.kd
    .uniform_work_group_size: 1
    .uses_dynamic_stack: false
    .vgpr_count:     22
    .vgpr_spill_count: 0
    .wavefront_size: 64
  - .agpr_count:     0
    .args:
      - .address_space:  global
        .offset:         0
        .size:           8
        .value_kind:     global_buffer
      - .address_space:  global
        .offset:         8
        .size:           8
        .value_kind:     global_buffer
      - .address_space:  global
        .offset:         16
        .size:           8
        .value_kind:     global_buffer
      - .address_space:  global
        .offset:         24
        .size:           8
        .value_kind:     global_buffer
      - .address_space:  global
        .offset:         32
        .size:           8
        .value_kind:     global_buffer
      - .address_space:  global
        .offset:         40
        .size:           8
        .value_kind:     global_buffer
      - .address_space:  global
        .offset:         48
        .size:           8
        .value_kind:     global_buffer
      - .address_space:  global
        .offset:         56
        .size:           8
        .value_kind:     global_buffer
      - .offset:         64
        .size:           4
        .value_kind:     by_value
      - .offset:         68
        .size:           4
        .value_kind:     by_value
      - .offset:         72
        .size:           4
        .value_kind:     by_value
      - .offset:         76
        .size:           4
        .value_kind:     by_value
      - .offset:         80
        .size:           4
        .value_kind:     by_value
      - .offset:         84
        .size:           4
        .value_kind:     by_value
      - .offset:         88
        .size:           4
        .value_kind:     by_value
      - .offset:         92
        .size:           12
        .value_kind:     by_value
      - .offset:         104
        .size:           4
        .value_kind:     by_value
      - .offset:         108
        .size:           4
        .value_kind:     by_value
      - .offset:         112
        .size:           4
        .value_kind:     by_value
      - .offset:         116
        .size:           4
        .value_kind:     by_value
      - .offset:         120
        .size:           4
        .value_kind:     by_value
      - .offset:         124
        .size:           4
        .value_kind:     by_value
      - .offset:         128
        .size:           4
        .value_kind:     by_value
      - .offset:         132
        .size:           4
        .value_kind:     by_value
      - .offset:         136
        .size:           4
        .value_kind:     by_value
      - .offset:         140
        .size:           4
        .value_kind:     by_value
      - .offset:         144
        .size:           4
        .value_kind:     by_value
      - .offset:         152
        .size:           8
        .value_kind:     by_value
      - .offset:         160
        .size:           4
        .value_kind:     by_value
      - .offset:         164
        .size:           4
        .value_kind:     by_value
      - .offset:         168
        .size:           8
        .value_kind:     by_value
      - .offset:         176
        .size:           4
        .value_kind:     by_value
      - .offset:         180
        .size:           4
        .value_kind:     by_value
      - .offset:         184
        .size:           4
        .value_kind:     by_value
      - .offset:         188
        .size:           4
        .value_kind:     by_value
      - .offset:         192
        .size:           4
        .value_kind:     by_value
      - .offset:         200
        .size:           8
        .value_kind:     by_value
      - .offset:         208
        .size:           4
        .value_kind:     hidden_block_count_x
      - .offset:         212
        .size:           4
        .value_kind:     hidden_block_count_y
      - .offset:         216
        .size:           4
        .value_kind:     hidden_block_count_z
      - .offset:         220
        .size:           2
        .value_kind:     hidden_group_size_x
      - .offset:         222
        .size:           2
        .value_kind:     hidden_group_size_y
      - .offset:         224
        .size:           2
        .value_kind:     hidden_group_size_z
      - .offset:         226
        .size:           2
        .value_kind:     hidden_remainder_x
      - .offset:         228
        .size:           2
        .value_kind:     hidden_remainder_y
      - .offset:         230
        .size:           2
        .value_kind:     hidden_remainder_z
      - .offset:         248
        .size:           8
        .value_kind:     hidden_global_offset_x
      - .offset:         256
        .size:           8
        .value_kind:     hidden_global_offset_y
      - .offset:         264
        .size:           8
        .value_kind:     hidden_global_offset_z
      - .offset:         272
        .size:           2
        .value_kind:     hidden_grid_dims
    .group_segment_fixed_size: 4608
    .kernarg_segment_align: 8
    .kernarg_segment_size: 464
    .language:       OpenCL C
    .language_version:
      - 2
      - 0
    .max_flat_workgroup_size: 128
    .name:           _ZL18flash_attn_ext_vecILi128ELi2EL9ggml_type2ELS0_30ELb1EEvPKcS2_S2_S2_S2_PKiPfP15HIP_vector_typeIfLj2EEffffjfiS6_IjLj3EEiiiiiiiiiiiliiliiiiil
    .private_segment_fixed_size: 80
    .sgpr_count:     79
    .sgpr_spill_count: 0
    .symbol:         _ZL18flash_attn_ext_vecILi128ELi2EL9ggml_type2ELS0_30ELb1EEvPKcS2_S2_S2_S2_PKiPfP15HIP_vector_typeIfLj2EEffffjfiS6_IjLj3EEiiiiiiiiiiiliiliiiiil.kd
    .uniform_work_group_size: 1
    .uses_dynamic_stack: false
    .vgpr_count:     125
    .vgpr_spill_count: 0
    .wavefront_size: 64
  - .agpr_count:     0
    .args:
      - .address_space:  global
        .offset:         0
        .size:           8
        .value_kind:     global_buffer
      - .address_space:  global
        .offset:         8
        .size:           8
        .value_kind:     global_buffer
      - .address_space:  global
        .offset:         16
        .size:           8
        .value_kind:     global_buffer
      - .address_space:  global
        .offset:         24
        .size:           8
        .value_kind:     global_buffer
      - .address_space:  global
        .offset:         32
        .size:           8
        .value_kind:     global_buffer
      - .address_space:  global
        .offset:         40
        .size:           8
        .value_kind:     global_buffer
      - .address_space:  global
        .offset:         48
        .size:           8
        .value_kind:     global_buffer
      - .address_space:  global
        .offset:         56
        .size:           8
        .value_kind:     global_buffer
      - .offset:         64
        .size:           4
        .value_kind:     by_value
      - .offset:         68
        .size:           4
        .value_kind:     by_value
      - .offset:         72
        .size:           4
        .value_kind:     by_value
      - .offset:         76
        .size:           4
        .value_kind:     by_value
      - .offset:         80
        .size:           4
        .value_kind:     by_value
      - .offset:         84
        .size:           4
        .value_kind:     by_value
      - .offset:         88
        .size:           4
        .value_kind:     by_value
      - .offset:         92
        .size:           12
        .value_kind:     by_value
      - .offset:         104
        .size:           4
        .value_kind:     by_value
      - .offset:         108
        .size:           4
        .value_kind:     by_value
      - .offset:         112
        .size:           4
        .value_kind:     by_value
      - .offset:         116
        .size:           4
        .value_kind:     by_value
      - .offset:         120
        .size:           4
        .value_kind:     by_value
      - .offset:         124
        .size:           4
        .value_kind:     by_value
      - .offset:         128
        .size:           4
        .value_kind:     by_value
      - .offset:         132
        .size:           4
        .value_kind:     by_value
      - .offset:         136
        .size:           4
        .value_kind:     by_value
      - .offset:         140
        .size:           4
        .value_kind:     by_value
      - .offset:         144
        .size:           4
        .value_kind:     by_value
      - .offset:         152
        .size:           8
        .value_kind:     by_value
      - .offset:         160
        .size:           4
        .value_kind:     by_value
      - .offset:         164
        .size:           4
        .value_kind:     by_value
      - .offset:         168
        .size:           8
        .value_kind:     by_value
      - .offset:         176
        .size:           4
        .value_kind:     by_value
      - .offset:         180
        .size:           4
        .value_kind:     by_value
      - .offset:         184
        .size:           4
        .value_kind:     by_value
      - .offset:         188
        .size:           4
        .value_kind:     by_value
      - .offset:         192
        .size:           4
        .value_kind:     by_value
      - .offset:         200
        .size:           8
        .value_kind:     by_value
      - .offset:         208
        .size:           4
        .value_kind:     hidden_block_count_x
      - .offset:         212
        .size:           4
        .value_kind:     hidden_block_count_y
      - .offset:         216
        .size:           4
        .value_kind:     hidden_block_count_z
      - .offset:         220
        .size:           2
        .value_kind:     hidden_group_size_x
      - .offset:         222
        .size:           2
        .value_kind:     hidden_group_size_y
      - .offset:         224
        .size:           2
        .value_kind:     hidden_group_size_z
      - .offset:         226
        .size:           2
        .value_kind:     hidden_remainder_x
      - .offset:         228
        .size:           2
        .value_kind:     hidden_remainder_y
      - .offset:         230
        .size:           2
        .value_kind:     hidden_remainder_z
      - .offset:         248
        .size:           8
        .value_kind:     hidden_global_offset_x
      - .offset:         256
        .size:           8
        .value_kind:     hidden_global_offset_y
      - .offset:         264
        .size:           8
        .value_kind:     hidden_global_offset_z
      - .offset:         272
        .size:           2
        .value_kind:     hidden_grid_dims
    .group_segment_fixed_size: 8448
    .kernarg_segment_align: 8
    .kernarg_segment_size: 464
    .language:       OpenCL C
    .language_version:
      - 2
      - 0
    .max_flat_workgroup_size: 128
    .name:           _ZL18flash_attn_ext_vecILi256ELi1EL9ggml_type2ELS0_30ELb0EEvPKcS2_S2_S2_S2_PKiPfP15HIP_vector_typeIfLj2EEffffjfiS6_IjLj3EEiiiiiiiiiiiliiliiiiil
    .private_segment_fixed_size: 0
    .sgpr_count:     58
    .sgpr_spill_count: 0
    .symbol:         _ZL18flash_attn_ext_vecILi256ELi1EL9ggml_type2ELS0_30ELb0EEvPKcS2_S2_S2_S2_PKiPfP15HIP_vector_typeIfLj2EEffffjfiS6_IjLj3EEiiiiiiiiiiiliiliiiiil.kd
    .uniform_work_group_size: 1
    .uses_dynamic_stack: false
    .vgpr_count:     127
    .vgpr_spill_count: 0
    .wavefront_size: 64
  - .agpr_count:     0
    .args:
      - .address_space:  global
        .offset:         0
        .size:           8
        .value_kind:     global_buffer
      - .address_space:  global
        .offset:         8
        .size:           8
        .value_kind:     global_buffer
      - .offset:         16
        .size:           4
        .value_kind:     by_value
      - .offset:         20
        .size:           4
        .value_kind:     by_value
      - .offset:         24
        .size:           4
        .value_kind:     by_value
      - .offset:         28
        .size:           4
        .value_kind:     by_value
      - .offset:         32
        .size:           4
        .value_kind:     by_value
      - .offset:         36
        .size:           4
        .value_kind:     by_value
      - .offset:         40
        .size:           12
        .value_kind:     by_value
      - .offset:         52
        .size:           12
        .value_kind:     by_value
      - .offset:         64
        .size:           12
        .value_kind:     by_value
    .group_segment_fixed_size: 0
    .kernarg_segment_align: 8
    .kernarg_segment_size: 76
    .language:       OpenCL C
    .language_version:
      - 2
      - 0
    .max_flat_workgroup_size: 256
    .name:           _ZL33flash_attn_stream_k_fixup_uniformILi256ELi1ELi1EEvPfPK15HIP_vector_typeIfLj2EEiiiiiiS1_IjLj3EES5_S5_
    .private_segment_fixed_size: 0
    .sgpr_count:     26
    .sgpr_spill_count: 0
    .symbol:         _ZL33flash_attn_stream_k_fixup_uniformILi256ELi1ELi1EEvPfPK15HIP_vector_typeIfLj2EEiiiiiiS1_IjLj3EES5_S5_.kd
    .uniform_work_group_size: 1
    .uses_dynamic_stack: false
    .vgpr_count:     16
    .vgpr_spill_count: 0
    .wavefront_size: 64
  - .agpr_count:     0
    .args:
      - .address_space:  global
        .offset:         0
        .size:           8
        .value_kind:     global_buffer
      - .address_space:  global
        .offset:         8
        .size:           8
        .value_kind:     global_buffer
      - .offset:         16
        .size:           4
        .value_kind:     by_value
      - .offset:         20
        .size:           4
        .value_kind:     by_value
      - .offset:         24
        .size:           4
        .value_kind:     by_value
      - .offset:         28
        .size:           4
        .value_kind:     by_value
      - .offset:         32
        .size:           12
        .value_kind:     by_value
      - .offset:         44
        .size:           12
        .value_kind:     by_value
      - .offset:         56
        .size:           12
        .value_kind:     by_value
      - .offset:         68
        .size:           12
        .value_kind:     by_value
      - .offset:         80
        .size:           4
        .value_kind:     hidden_block_count_x
      - .offset:         84
        .size:           4
        .value_kind:     hidden_block_count_y
      - .offset:         88
        .size:           4
        .value_kind:     hidden_block_count_z
      - .offset:         92
        .size:           2
        .value_kind:     hidden_group_size_x
      - .offset:         94
        .size:           2
        .value_kind:     hidden_group_size_y
      - .offset:         96
        .size:           2
        .value_kind:     hidden_group_size_z
      - .offset:         98
        .size:           2
        .value_kind:     hidden_remainder_x
      - .offset:         100
        .size:           2
        .value_kind:     hidden_remainder_y
      - .offset:         102
        .size:           2
        .value_kind:     hidden_remainder_z
      - .offset:         120
        .size:           8
        .value_kind:     hidden_global_offset_x
      - .offset:         128
        .size:           8
        .value_kind:     hidden_global_offset_y
      - .offset:         136
        .size:           8
        .value_kind:     hidden_global_offset_z
      - .offset:         144
        .size:           2
        .value_kind:     hidden_grid_dims
    .group_segment_fixed_size: 0
    .kernarg_segment_align: 8
    .kernarg_segment_size: 336
    .language:       OpenCL C
    .language_version:
      - 2
      - 0
    .max_flat_workgroup_size: 256
    .name:           _ZL33flash_attn_stream_k_fixup_generalILi256ELi1ELi1EEvPfPK15HIP_vector_typeIfLj2EEiiiiS1_IjLj3EES5_S5_S5_
    .private_segment_fixed_size: 0
    .sgpr_count:     38
    .sgpr_spill_count: 0
    .symbol:         _ZL33flash_attn_stream_k_fixup_generalILi256ELi1ELi1EEvPfPK15HIP_vector_typeIfLj2EEiiiiS1_IjLj3EES5_S5_S5_.kd
    .uniform_work_group_size: 1
    .uses_dynamic_stack: false
    .vgpr_count:     22
    .vgpr_spill_count: 0
    .wavefront_size: 64
  - .agpr_count:     0
    .args:
      - .address_space:  global
        .offset:         0
        .size:           8
        .value_kind:     global_buffer
      - .address_space:  global
        .offset:         8
        .size:           8
        .value_kind:     global_buffer
      - .address_space:  global
        .offset:         16
        .size:           8
        .value_kind:     global_buffer
      - .offset:         24
        .size:           4
        .value_kind:     by_value
      - .offset:         32
        .size:           4
        .value_kind:     hidden_block_count_x
      - .offset:         36
        .size:           4
        .value_kind:     hidden_block_count_y
      - .offset:         40
        .size:           4
        .value_kind:     hidden_block_count_z
      - .offset:         44
        .size:           2
        .value_kind:     hidden_group_size_x
      - .offset:         46
        .size:           2
        .value_kind:     hidden_group_size_y
      - .offset:         48
        .size:           2
        .value_kind:     hidden_group_size_z
      - .offset:         50
        .size:           2
        .value_kind:     hidden_remainder_x
      - .offset:         52
        .size:           2
        .value_kind:     hidden_remainder_y
      - .offset:         54
        .size:           2
        .value_kind:     hidden_remainder_z
      - .offset:         72
        .size:           8
        .value_kind:     hidden_global_offset_x
      - .offset:         80
        .size:           8
        .value_kind:     hidden_global_offset_y
      - .offset:         88
        .size:           8
        .value_kind:     hidden_global_offset_z
      - .offset:         96
        .size:           2
        .value_kind:     hidden_grid_dims
      - .offset:         152
        .size:           4
        .value_kind:     hidden_dynamic_lds_size
    .group_segment_fixed_size: 0
    .kernarg_segment_align: 8
    .kernarg_segment_size: 288
    .language:       OpenCL C
    .language_version:
      - 2
      - 0
    .max_flat_workgroup_size: 256
    .name:           _ZL26flash_attn_combine_resultsILi256EEvPKfPK15HIP_vector_typeIfLj2EEPfi
    .private_segment_fixed_size: 0
    .sgpr_count:     32
    .sgpr_spill_count: 0
    .symbol:         _ZL26flash_attn_combine_resultsILi256EEvPKfPK15HIP_vector_typeIfLj2EEPfi.kd
    .uniform_work_group_size: 1
    .uses_dynamic_stack: false
    .vgpr_count:     51
    .vgpr_spill_count: 0
    .wavefront_size: 64
  - .agpr_count:     0
    .args:
      - .address_space:  global
        .offset:         0
        .size:           8
        .value_kind:     global_buffer
      - .address_space:  global
        .offset:         8
        .size:           8
        .value_kind:     global_buffer
      - .address_space:  global
        .offset:         16
        .size:           8
        .value_kind:     global_buffer
      - .address_space:  global
        .offset:         24
        .size:           8
        .value_kind:     global_buffer
      - .address_space:  global
        .offset:         32
        .size:           8
        .value_kind:     global_buffer
      - .address_space:  global
        .offset:         40
        .size:           8
        .value_kind:     global_buffer
      - .address_space:  global
        .offset:         48
        .size:           8
        .value_kind:     global_buffer
      - .address_space:  global
        .offset:         56
        .size:           8
        .value_kind:     global_buffer
      - .offset:         64
        .size:           4
        .value_kind:     by_value
      - .offset:         68
        .size:           4
        .value_kind:     by_value
      - .offset:         72
        .size:           4
        .value_kind:     by_value
      - .offset:         76
        .size:           4
        .value_kind:     by_value
      - .offset:         80
        .size:           4
        .value_kind:     by_value
      - .offset:         84
        .size:           4
        .value_kind:     by_value
      - .offset:         88
        .size:           4
        .value_kind:     by_value
      - .offset:         92
        .size:           12
        .value_kind:     by_value
      - .offset:         104
        .size:           4
        .value_kind:     by_value
      - .offset:         108
        .size:           4
        .value_kind:     by_value
      - .offset:         112
        .size:           4
        .value_kind:     by_value
      - .offset:         116
        .size:           4
        .value_kind:     by_value
      - .offset:         120
        .size:           4
        .value_kind:     by_value
      - .offset:         124
        .size:           4
        .value_kind:     by_value
      - .offset:         128
        .size:           4
        .value_kind:     by_value
      - .offset:         132
        .size:           4
        .value_kind:     by_value
      - .offset:         136
        .size:           4
        .value_kind:     by_value
      - .offset:         140
        .size:           4
        .value_kind:     by_value
      - .offset:         144
        .size:           4
        .value_kind:     by_value
      - .offset:         152
        .size:           8
        .value_kind:     by_value
      - .offset:         160
        .size:           4
        .value_kind:     by_value
      - .offset:         164
        .size:           4
        .value_kind:     by_value
      - .offset:         168
        .size:           8
        .value_kind:     by_value
      - .offset:         176
        .size:           4
        .value_kind:     by_value
      - .offset:         180
        .size:           4
        .value_kind:     by_value
      - .offset:         184
        .size:           4
        .value_kind:     by_value
      - .offset:         188
        .size:           4
        .value_kind:     by_value
      - .offset:         192
        .size:           4
        .value_kind:     by_value
      - .offset:         200
        .size:           8
        .value_kind:     by_value
      - .offset:         208
        .size:           4
        .value_kind:     hidden_block_count_x
      - .offset:         212
        .size:           4
        .value_kind:     hidden_block_count_y
      - .offset:         216
        .size:           4
        .value_kind:     hidden_block_count_z
      - .offset:         220
        .size:           2
        .value_kind:     hidden_group_size_x
      - .offset:         222
        .size:           2
        .value_kind:     hidden_group_size_y
      - .offset:         224
        .size:           2
        .value_kind:     hidden_group_size_z
      - .offset:         226
        .size:           2
        .value_kind:     hidden_remainder_x
      - .offset:         228
        .size:           2
        .value_kind:     hidden_remainder_y
      - .offset:         230
        .size:           2
        .value_kind:     hidden_remainder_z
      - .offset:         248
        .size:           8
        .value_kind:     hidden_global_offset_x
      - .offset:         256
        .size:           8
        .value_kind:     hidden_global_offset_y
      - .offset:         264
        .size:           8
        .value_kind:     hidden_global_offset_z
      - .offset:         272
        .size:           2
        .value_kind:     hidden_grid_dims
    .group_segment_fixed_size: 8448
    .kernarg_segment_align: 8
    .kernarg_segment_size: 464
    .language:       OpenCL C
    .language_version:
      - 2
      - 0
    .max_flat_workgroup_size: 128
    .name:           _ZL18flash_attn_ext_vecILi256ELi1EL9ggml_type2ELS0_30ELb1EEvPKcS2_S2_S2_S2_PKiPfP15HIP_vector_typeIfLj2EEffffjfiS6_IjLj3EEiiiiiiiiiiiliiliiiiil
    .private_segment_fixed_size: 0
    .sgpr_count:     62
    .sgpr_spill_count: 0
    .symbol:         _ZL18flash_attn_ext_vecILi256ELi1EL9ggml_type2ELS0_30ELb1EEvPKcS2_S2_S2_S2_PKiPfP15HIP_vector_typeIfLj2EEffffjfiS6_IjLj3EEiiiiiiiiiiiliiliiiiil.kd
    .uniform_work_group_size: 1
    .uses_dynamic_stack: false
    .vgpr_count:     115
    .vgpr_spill_count: 0
    .wavefront_size: 64
  - .agpr_count:     0
    .args:
      - .address_space:  global
        .offset:         0
        .size:           8
        .value_kind:     global_buffer
      - .address_space:  global
        .offset:         8
        .size:           8
        .value_kind:     global_buffer
      - .address_space:  global
        .offset:         16
        .size:           8
        .value_kind:     global_buffer
      - .address_space:  global
        .offset:         24
        .size:           8
        .value_kind:     global_buffer
      - .address_space:  global
        .offset:         32
        .size:           8
        .value_kind:     global_buffer
      - .address_space:  global
        .offset:         40
        .size:           8
        .value_kind:     global_buffer
      - .address_space:  global
        .offset:         48
        .size:           8
        .value_kind:     global_buffer
      - .address_space:  global
        .offset:         56
        .size:           8
        .value_kind:     global_buffer
      - .offset:         64
        .size:           4
        .value_kind:     by_value
      - .offset:         68
        .size:           4
        .value_kind:     by_value
      - .offset:         72
        .size:           4
        .value_kind:     by_value
      - .offset:         76
        .size:           4
        .value_kind:     by_value
      - .offset:         80
        .size:           4
        .value_kind:     by_value
      - .offset:         84
        .size:           4
        .value_kind:     by_value
      - .offset:         88
        .size:           4
        .value_kind:     by_value
      - .offset:         92
        .size:           12
        .value_kind:     by_value
      - .offset:         104
        .size:           4
        .value_kind:     by_value
      - .offset:         108
        .size:           4
        .value_kind:     by_value
      - .offset:         112
        .size:           4
        .value_kind:     by_value
      - .offset:         116
        .size:           4
        .value_kind:     by_value
      - .offset:         120
        .size:           4
        .value_kind:     by_value
      - .offset:         124
        .size:           4
        .value_kind:     by_value
      - .offset:         128
        .size:           4
        .value_kind:     by_value
      - .offset:         132
        .size:           4
        .value_kind:     by_value
      - .offset:         136
        .size:           4
        .value_kind:     by_value
      - .offset:         140
        .size:           4
        .value_kind:     by_value
      - .offset:         144
        .size:           4
        .value_kind:     by_value
      - .offset:         152
        .size:           8
        .value_kind:     by_value
      - .offset:         160
        .size:           4
        .value_kind:     by_value
      - .offset:         164
        .size:           4
        .value_kind:     by_value
      - .offset:         168
        .size:           8
        .value_kind:     by_value
      - .offset:         176
        .size:           4
        .value_kind:     by_value
      - .offset:         180
        .size:           4
        .value_kind:     by_value
      - .offset:         184
        .size:           4
        .value_kind:     by_value
      - .offset:         188
        .size:           4
        .value_kind:     by_value
      - .offset:         192
        .size:           4
        .value_kind:     by_value
      - .offset:         200
        .size:           8
        .value_kind:     by_value
      - .offset:         208
        .size:           4
        .value_kind:     hidden_block_count_x
      - .offset:         212
        .size:           4
        .value_kind:     hidden_block_count_y
      - .offset:         216
        .size:           4
        .value_kind:     hidden_block_count_z
      - .offset:         220
        .size:           2
        .value_kind:     hidden_group_size_x
      - .offset:         222
        .size:           2
        .value_kind:     hidden_group_size_y
      - .offset:         224
        .size:           2
        .value_kind:     hidden_group_size_z
      - .offset:         226
        .size:           2
        .value_kind:     hidden_remainder_x
      - .offset:         228
        .size:           2
        .value_kind:     hidden_remainder_y
      - .offset:         230
        .size:           2
        .value_kind:     hidden_remainder_z
      - .offset:         248
        .size:           8
        .value_kind:     hidden_global_offset_x
      - .offset:         256
        .size:           8
        .value_kind:     hidden_global_offset_y
      - .offset:         264
        .size:           8
        .value_kind:     hidden_global_offset_z
      - .offset:         272
        .size:           2
        .value_kind:     hidden_grid_dims
    .group_segment_fixed_size: 8704
    .kernarg_segment_align: 8
    .kernarg_segment_size: 464
    .language:       OpenCL C
    .language_version:
      - 2
      - 0
    .max_flat_workgroup_size: 128
    .name:           _ZL18flash_attn_ext_vecILi256ELi2EL9ggml_type2ELS0_30ELb0EEvPKcS2_S2_S2_S2_PKiPfP15HIP_vector_typeIfLj2EEffffjfiS6_IjLj3EEiiiiiiiiiiiliiliiiiil
    .private_segment_fixed_size: 144
    .sgpr_count:     66
    .sgpr_spill_count: 0
    .symbol:         _ZL18flash_attn_ext_vecILi256ELi2EL9ggml_type2ELS0_30ELb0EEvPKcS2_S2_S2_S2_PKiPfP15HIP_vector_typeIfLj2EEffffjfiS6_IjLj3EEiiiiiiiiiiiliiliiiiil.kd
    .uniform_work_group_size: 1
    .uses_dynamic_stack: false
    .vgpr_count:     172
    .vgpr_spill_count: 0
    .wavefront_size: 64
  - .agpr_count:     0
    .args:
      - .address_space:  global
        .offset:         0
        .size:           8
        .value_kind:     global_buffer
      - .address_space:  global
        .offset:         8
        .size:           8
        .value_kind:     global_buffer
      - .offset:         16
        .size:           4
        .value_kind:     by_value
      - .offset:         20
        .size:           4
        .value_kind:     by_value
      - .offset:         24
        .size:           4
        .value_kind:     by_value
      - .offset:         28
        .size:           4
        .value_kind:     by_value
      - .offset:         32
        .size:           4
        .value_kind:     by_value
      - .offset:         36
        .size:           4
        .value_kind:     by_value
      - .offset:         40
        .size:           12
        .value_kind:     by_value
      - .offset:         52
        .size:           12
        .value_kind:     by_value
      - .offset:         64
        .size:           12
        .value_kind:     by_value
    .group_segment_fixed_size: 0
    .kernarg_segment_align: 8
    .kernarg_segment_size: 76
    .language:       OpenCL C
    .language_version:
      - 2
      - 0
    .max_flat_workgroup_size: 256
    .name:           _ZL33flash_attn_stream_k_fixup_uniformILi256ELi2ELi1EEvPfPK15HIP_vector_typeIfLj2EEiiiiiiS1_IjLj3EES5_S5_
    .private_segment_fixed_size: 0
    .sgpr_count:     30
    .sgpr_spill_count: 0
    .symbol:         _ZL33flash_attn_stream_k_fixup_uniformILi256ELi2ELi1EEvPfPK15HIP_vector_typeIfLj2EEiiiiiiS1_IjLj3EES5_S5_.kd
    .uniform_work_group_size: 1
    .uses_dynamic_stack: false
    .vgpr_count:     16
    .vgpr_spill_count: 0
    .wavefront_size: 64
  - .agpr_count:     0
    .args:
      - .address_space:  global
        .offset:         0
        .size:           8
        .value_kind:     global_buffer
      - .address_space:  global
        .offset:         8
        .size:           8
        .value_kind:     global_buffer
      - .offset:         16
        .size:           4
        .value_kind:     by_value
      - .offset:         20
        .size:           4
        .value_kind:     by_value
      - .offset:         24
        .size:           4
        .value_kind:     by_value
      - .offset:         28
        .size:           4
        .value_kind:     by_value
      - .offset:         32
        .size:           12
        .value_kind:     by_value
      - .offset:         44
        .size:           12
        .value_kind:     by_value
      - .offset:         56
        .size:           12
        .value_kind:     by_value
      - .offset:         68
        .size:           12
        .value_kind:     by_value
      - .offset:         80
        .size:           4
        .value_kind:     hidden_block_count_x
      - .offset:         84
        .size:           4
        .value_kind:     hidden_block_count_y
      - .offset:         88
        .size:           4
        .value_kind:     hidden_block_count_z
      - .offset:         92
        .size:           2
        .value_kind:     hidden_group_size_x
      - .offset:         94
        .size:           2
        .value_kind:     hidden_group_size_y
      - .offset:         96
        .size:           2
        .value_kind:     hidden_group_size_z
      - .offset:         98
        .size:           2
        .value_kind:     hidden_remainder_x
      - .offset:         100
        .size:           2
        .value_kind:     hidden_remainder_y
      - .offset:         102
        .size:           2
        .value_kind:     hidden_remainder_z
      - .offset:         120
        .size:           8
        .value_kind:     hidden_global_offset_x
      - .offset:         128
        .size:           8
        .value_kind:     hidden_global_offset_y
      - .offset:         136
        .size:           8
        .value_kind:     hidden_global_offset_z
      - .offset:         144
        .size:           2
        .value_kind:     hidden_grid_dims
    .group_segment_fixed_size: 0
    .kernarg_segment_align: 8
    .kernarg_segment_size: 336
    .language:       OpenCL C
    .language_version:
      - 2
      - 0
    .max_flat_workgroup_size: 256
    .name:           _ZL33flash_attn_stream_k_fixup_generalILi256ELi2ELi1EEvPfPK15HIP_vector_typeIfLj2EEiiiiS1_IjLj3EES5_S5_S5_
    .private_segment_fixed_size: 0
    .sgpr_count:     38
    .sgpr_spill_count: 0
    .symbol:         _ZL33flash_attn_stream_k_fixup_generalILi256ELi2ELi1EEvPfPK15HIP_vector_typeIfLj2EEiiiiS1_IjLj3EES5_S5_S5_.kd
    .uniform_work_group_size: 1
    .uses_dynamic_stack: false
    .vgpr_count:     22
    .vgpr_spill_count: 0
    .wavefront_size: 64
  - .agpr_count:     0
    .args:
      - .address_space:  global
        .offset:         0
        .size:           8
        .value_kind:     global_buffer
      - .address_space:  global
        .offset:         8
        .size:           8
        .value_kind:     global_buffer
      - .address_space:  global
        .offset:         16
        .size:           8
        .value_kind:     global_buffer
      - .address_space:  global
        .offset:         24
        .size:           8
        .value_kind:     global_buffer
      - .address_space:  global
        .offset:         32
        .size:           8
        .value_kind:     global_buffer
      - .address_space:  global
        .offset:         40
        .size:           8
        .value_kind:     global_buffer
      - .address_space:  global
        .offset:         48
        .size:           8
        .value_kind:     global_buffer
      - .address_space:  global
        .offset:         56
        .size:           8
        .value_kind:     global_buffer
      - .offset:         64
        .size:           4
        .value_kind:     by_value
      - .offset:         68
        .size:           4
        .value_kind:     by_value
      - .offset:         72
        .size:           4
        .value_kind:     by_value
      - .offset:         76
        .size:           4
        .value_kind:     by_value
      - .offset:         80
        .size:           4
        .value_kind:     by_value
      - .offset:         84
        .size:           4
        .value_kind:     by_value
      - .offset:         88
        .size:           4
        .value_kind:     by_value
      - .offset:         92
        .size:           12
        .value_kind:     by_value
      - .offset:         104
        .size:           4
        .value_kind:     by_value
      - .offset:         108
        .size:           4
        .value_kind:     by_value
      - .offset:         112
        .size:           4
        .value_kind:     by_value
      - .offset:         116
        .size:           4
        .value_kind:     by_value
      - .offset:         120
        .size:           4
        .value_kind:     by_value
      - .offset:         124
        .size:           4
        .value_kind:     by_value
      - .offset:         128
        .size:           4
        .value_kind:     by_value
      - .offset:         132
        .size:           4
        .value_kind:     by_value
      - .offset:         136
        .size:           4
        .value_kind:     by_value
      - .offset:         140
        .size:           4
        .value_kind:     by_value
      - .offset:         144
        .size:           4
        .value_kind:     by_value
      - .offset:         152
        .size:           8
        .value_kind:     by_value
      - .offset:         160
        .size:           4
        .value_kind:     by_value
      - .offset:         164
        .size:           4
        .value_kind:     by_value
      - .offset:         168
        .size:           8
        .value_kind:     by_value
      - .offset:         176
        .size:           4
        .value_kind:     by_value
      - .offset:         180
        .size:           4
        .value_kind:     by_value
      - .offset:         184
        .size:           4
        .value_kind:     by_value
      - .offset:         188
        .size:           4
        .value_kind:     by_value
      - .offset:         192
        .size:           4
        .value_kind:     by_value
      - .offset:         200
        .size:           8
        .value_kind:     by_value
      - .offset:         208
        .size:           4
        .value_kind:     hidden_block_count_x
      - .offset:         212
        .size:           4
        .value_kind:     hidden_block_count_y
      - .offset:         216
        .size:           4
        .value_kind:     hidden_block_count_z
      - .offset:         220
        .size:           2
        .value_kind:     hidden_group_size_x
      - .offset:         222
        .size:           2
        .value_kind:     hidden_group_size_y
      - .offset:         224
        .size:           2
        .value_kind:     hidden_group_size_z
      - .offset:         226
        .size:           2
        .value_kind:     hidden_remainder_x
      - .offset:         228
        .size:           2
        .value_kind:     hidden_remainder_y
      - .offset:         230
        .size:           2
        .value_kind:     hidden_remainder_z
      - .offset:         248
        .size:           8
        .value_kind:     hidden_global_offset_x
      - .offset:         256
        .size:           8
        .value_kind:     hidden_global_offset_y
      - .offset:         264
        .size:           8
        .value_kind:     hidden_global_offset_z
      - .offset:         272
        .size:           2
        .value_kind:     hidden_grid_dims
    .group_segment_fixed_size: 8704
    .kernarg_segment_align: 8
    .kernarg_segment_size: 464
    .language:       OpenCL C
    .language_version:
      - 2
      - 0
    .max_flat_workgroup_size: 128
    .name:           _ZL18flash_attn_ext_vecILi256ELi2EL9ggml_type2ELS0_30ELb1EEvPKcS2_S2_S2_S2_PKiPfP15HIP_vector_typeIfLj2EEffffjfiS6_IjLj3EEiiiiiiiiiiiliiliiiiil
    .private_segment_fixed_size: 144
    .sgpr_count:     66
    .sgpr_spill_count: 0
    .symbol:         _ZL18flash_attn_ext_vecILi256ELi2EL9ggml_type2ELS0_30ELb1EEvPKcS2_S2_S2_S2_PKiPfP15HIP_vector_typeIfLj2EEffffjfiS6_IjLj3EEiiiiiiiiiiiliiliiiiil.kd
    .uniform_work_group_size: 1
    .uses_dynamic_stack: false
    .vgpr_count:     173
    .vgpr_spill_count: 0
    .wavefront_size: 64
amdhsa.target:   amdgcn-amd-amdhsa--gfx942
amdhsa.version:
  - 1
  - 2
...

	.end_amdgpu_metadata
